;; amdgpu-corpus repo=ROCm/rocFFT kind=compiled arch=gfx1201 opt=O3
	.text
	.amdgcn_target "amdgcn-amd-amdhsa--gfx1201"
	.amdhsa_code_object_version 6
	.protected	fft_rtc_fwd_len2160_factors_10_6_6_6_wgs_60_tpt_60_halfLds_dp_ip_CI_unitstride_sbrr_C2R_dirReg ; -- Begin function fft_rtc_fwd_len2160_factors_10_6_6_6_wgs_60_tpt_60_halfLds_dp_ip_CI_unitstride_sbrr_C2R_dirReg
	.globl	fft_rtc_fwd_len2160_factors_10_6_6_6_wgs_60_tpt_60_halfLds_dp_ip_CI_unitstride_sbrr_C2R_dirReg
	.p2align	8
	.type	fft_rtc_fwd_len2160_factors_10_6_6_6_wgs_60_tpt_60_halfLds_dp_ip_CI_unitstride_sbrr_C2R_dirReg,@function
fft_rtc_fwd_len2160_factors_10_6_6_6_wgs_60_tpt_60_halfLds_dp_ip_CI_unitstride_sbrr_C2R_dirReg: ; @fft_rtc_fwd_len2160_factors_10_6_6_6_wgs_60_tpt_60_halfLds_dp_ip_CI_unitstride_sbrr_C2R_dirReg
; %bb.0:
	s_clause 0x2
	s_load_b128 s[4:7], s[0:1], 0x0
	s_load_b64 s[8:9], s[0:1], 0x50
	s_load_b64 s[10:11], s[0:1], 0x18
	v_mul_u32_u24_e32 v1, 0x445, v0
	v_mov_b32_e32 v3, 0
	s_delay_alu instid0(VALU_DEP_2) | instskip(NEXT) | instid1(VALU_DEP_1)
	v_lshrrev_b32_e32 v1, 16, v1
	v_add_nc_u32_e32 v5, ttmp9, v1
	v_mov_b32_e32 v1, 0
	v_mov_b32_e32 v2, 0
	;; [unrolled: 1-line block ×3, first 2 shown]
	s_wait_kmcnt 0x0
	v_cmp_lt_u64_e64 s2, s[6:7], 2
	s_delay_alu instid0(VALU_DEP_1)
	s_and_b32 vcc_lo, exec_lo, s2
	s_cbranch_vccnz .LBB0_8
; %bb.1:
	s_load_b64 s[2:3], s[0:1], 0x10
	v_mov_b32_e32 v1, 0
	v_mov_b32_e32 v2, 0
	s_add_nc_u64 s[12:13], s[10:11], 8
	s_mov_b64 s[14:15], 1
	s_wait_kmcnt 0x0
	s_add_nc_u64 s[16:17], s[2:3], 8
	s_mov_b32 s3, 0
.LBB0_2:                                ; =>This Inner Loop Header: Depth=1
	s_load_b64 s[18:19], s[16:17], 0x0
                                        ; implicit-def: $vgpr7_vgpr8
	s_mov_b32 s2, exec_lo
	s_wait_kmcnt 0x0
	v_or_b32_e32 v4, s19, v6
	s_delay_alu instid0(VALU_DEP_1)
	v_cmpx_ne_u64_e32 0, v[3:4]
	s_wait_alu 0xfffe
	s_xor_b32 s20, exec_lo, s2
	s_cbranch_execz .LBB0_4
; %bb.3:                                ;   in Loop: Header=BB0_2 Depth=1
	s_cvt_f32_u32 s2, s18
	s_cvt_f32_u32 s21, s19
	s_sub_nc_u64 s[24:25], 0, s[18:19]
	s_wait_alu 0xfffe
	s_delay_alu instid0(SALU_CYCLE_1) | instskip(SKIP_1) | instid1(SALU_CYCLE_2)
	s_fmamk_f32 s2, s21, 0x4f800000, s2
	s_wait_alu 0xfffe
	v_s_rcp_f32 s2, s2
	s_delay_alu instid0(TRANS32_DEP_1) | instskip(SKIP_1) | instid1(SALU_CYCLE_2)
	s_mul_f32 s2, s2, 0x5f7ffffc
	s_wait_alu 0xfffe
	s_mul_f32 s21, s2, 0x2f800000
	s_wait_alu 0xfffe
	s_delay_alu instid0(SALU_CYCLE_2) | instskip(SKIP_1) | instid1(SALU_CYCLE_2)
	s_trunc_f32 s21, s21
	s_wait_alu 0xfffe
	s_fmamk_f32 s2, s21, 0xcf800000, s2
	s_cvt_u32_f32 s23, s21
	s_wait_alu 0xfffe
	s_delay_alu instid0(SALU_CYCLE_1) | instskip(SKIP_1) | instid1(SALU_CYCLE_2)
	s_cvt_u32_f32 s22, s2
	s_wait_alu 0xfffe
	s_mul_u64 s[26:27], s[24:25], s[22:23]
	s_wait_alu 0xfffe
	s_mul_hi_u32 s29, s22, s27
	s_mul_i32 s28, s22, s27
	s_mul_hi_u32 s2, s22, s26
	s_mul_i32 s30, s23, s26
	s_wait_alu 0xfffe
	s_add_nc_u64 s[28:29], s[2:3], s[28:29]
	s_mul_hi_u32 s21, s23, s26
	s_mul_hi_u32 s31, s23, s27
	s_add_co_u32 s2, s28, s30
	s_wait_alu 0xfffe
	s_add_co_ci_u32 s2, s29, s21
	s_mul_i32 s26, s23, s27
	s_add_co_ci_u32 s27, s31, 0
	s_wait_alu 0xfffe
	s_add_nc_u64 s[26:27], s[2:3], s[26:27]
	s_wait_alu 0xfffe
	v_add_co_u32 v4, s2, s22, s26
	s_delay_alu instid0(VALU_DEP_1) | instskip(SKIP_1) | instid1(VALU_DEP_1)
	s_cmp_lg_u32 s2, 0
	s_add_co_ci_u32 s23, s23, s27
	v_readfirstlane_b32 s22, v4
	s_wait_alu 0xfffe
	s_delay_alu instid0(VALU_DEP_1)
	s_mul_u64 s[24:25], s[24:25], s[22:23]
	s_wait_alu 0xfffe
	s_mul_hi_u32 s27, s22, s25
	s_mul_i32 s26, s22, s25
	s_mul_hi_u32 s2, s22, s24
	s_mul_i32 s28, s23, s24
	s_wait_alu 0xfffe
	s_add_nc_u64 s[26:27], s[2:3], s[26:27]
	s_mul_hi_u32 s21, s23, s24
	s_mul_hi_u32 s22, s23, s25
	s_wait_alu 0xfffe
	s_add_co_u32 s2, s26, s28
	s_add_co_ci_u32 s2, s27, s21
	s_mul_i32 s24, s23, s25
	s_add_co_ci_u32 s25, s22, 0
	s_wait_alu 0xfffe
	s_add_nc_u64 s[24:25], s[2:3], s[24:25]
	s_wait_alu 0xfffe
	v_add_co_u32 v4, s2, v4, s24
	s_delay_alu instid0(VALU_DEP_1) | instskip(SKIP_1) | instid1(VALU_DEP_1)
	s_cmp_lg_u32 s2, 0
	s_add_co_ci_u32 s2, s23, s25
	v_mul_hi_u32 v13, v5, v4
	s_wait_alu 0xfffe
	v_mad_co_u64_u32 v[7:8], null, v5, s2, 0
	v_mad_co_u64_u32 v[9:10], null, v6, v4, 0
	;; [unrolled: 1-line block ×3, first 2 shown]
	s_delay_alu instid0(VALU_DEP_3) | instskip(SKIP_1) | instid1(VALU_DEP_4)
	v_add_co_u32 v4, vcc_lo, v13, v7
	s_wait_alu 0xfffd
	v_add_co_ci_u32_e32 v7, vcc_lo, 0, v8, vcc_lo
	s_delay_alu instid0(VALU_DEP_2) | instskip(SKIP_1) | instid1(VALU_DEP_2)
	v_add_co_u32 v4, vcc_lo, v4, v9
	s_wait_alu 0xfffd
	v_add_co_ci_u32_e32 v4, vcc_lo, v7, v10, vcc_lo
	s_wait_alu 0xfffd
	v_add_co_ci_u32_e32 v7, vcc_lo, 0, v12, vcc_lo
	s_delay_alu instid0(VALU_DEP_2) | instskip(SKIP_1) | instid1(VALU_DEP_2)
	v_add_co_u32 v4, vcc_lo, v4, v11
	s_wait_alu 0xfffd
	v_add_co_ci_u32_e32 v9, vcc_lo, 0, v7, vcc_lo
	s_delay_alu instid0(VALU_DEP_2) | instskip(SKIP_1) | instid1(VALU_DEP_3)
	v_mul_lo_u32 v10, s19, v4
	v_mad_co_u64_u32 v[7:8], null, s18, v4, 0
	v_mul_lo_u32 v11, s18, v9
	s_delay_alu instid0(VALU_DEP_2) | instskip(NEXT) | instid1(VALU_DEP_2)
	v_sub_co_u32 v7, vcc_lo, v5, v7
	v_add3_u32 v8, v8, v11, v10
	s_delay_alu instid0(VALU_DEP_1) | instskip(SKIP_1) | instid1(VALU_DEP_1)
	v_sub_nc_u32_e32 v10, v6, v8
	s_wait_alu 0xfffd
	v_subrev_co_ci_u32_e64 v10, s2, s19, v10, vcc_lo
	v_add_co_u32 v11, s2, v4, 2
	s_wait_alu 0xf1ff
	v_add_co_ci_u32_e64 v12, s2, 0, v9, s2
	v_sub_co_u32 v13, s2, v7, s18
	v_sub_co_ci_u32_e32 v8, vcc_lo, v6, v8, vcc_lo
	s_wait_alu 0xf1ff
	v_subrev_co_ci_u32_e64 v10, s2, 0, v10, s2
	s_delay_alu instid0(VALU_DEP_3) | instskip(NEXT) | instid1(VALU_DEP_3)
	v_cmp_le_u32_e32 vcc_lo, s18, v13
	v_cmp_eq_u32_e64 s2, s19, v8
	s_wait_alu 0xfffd
	v_cndmask_b32_e64 v13, 0, -1, vcc_lo
	v_cmp_le_u32_e32 vcc_lo, s19, v10
	s_wait_alu 0xfffd
	v_cndmask_b32_e64 v14, 0, -1, vcc_lo
	v_cmp_le_u32_e32 vcc_lo, s18, v7
	;; [unrolled: 3-line block ×3, first 2 shown]
	s_wait_alu 0xfffd
	v_cndmask_b32_e64 v15, 0, -1, vcc_lo
	v_cmp_eq_u32_e32 vcc_lo, s19, v10
	s_wait_alu 0xf1ff
	s_delay_alu instid0(VALU_DEP_2)
	v_cndmask_b32_e64 v7, v15, v7, s2
	s_wait_alu 0xfffd
	v_cndmask_b32_e32 v10, v14, v13, vcc_lo
	v_add_co_u32 v13, vcc_lo, v4, 1
	s_wait_alu 0xfffd
	v_add_co_ci_u32_e32 v14, vcc_lo, 0, v9, vcc_lo
	s_delay_alu instid0(VALU_DEP_3) | instskip(SKIP_2) | instid1(VALU_DEP_3)
	v_cmp_ne_u32_e32 vcc_lo, 0, v10
	s_wait_alu 0xfffd
	v_cndmask_b32_e32 v10, v13, v11, vcc_lo
	v_cndmask_b32_e32 v8, v14, v12, vcc_lo
	v_cmp_ne_u32_e32 vcc_lo, 0, v7
	s_wait_alu 0xfffd
	s_delay_alu instid0(VALU_DEP_2)
	v_dual_cndmask_b32 v7, v4, v10 :: v_dual_cndmask_b32 v8, v9, v8
.LBB0_4:                                ;   in Loop: Header=BB0_2 Depth=1
	s_wait_alu 0xfffe
	s_and_not1_saveexec_b32 s2, s20
	s_cbranch_execz .LBB0_6
; %bb.5:                                ;   in Loop: Header=BB0_2 Depth=1
	v_cvt_f32_u32_e32 v4, s18
	s_sub_co_i32 s20, 0, s18
	s_delay_alu instid0(VALU_DEP_1) | instskip(NEXT) | instid1(TRANS32_DEP_1)
	v_rcp_iflag_f32_e32 v4, v4
	v_mul_f32_e32 v4, 0x4f7ffffe, v4
	s_delay_alu instid0(VALU_DEP_1) | instskip(SKIP_1) | instid1(VALU_DEP_1)
	v_cvt_u32_f32_e32 v4, v4
	s_wait_alu 0xfffe
	v_mul_lo_u32 v7, s20, v4
	s_delay_alu instid0(VALU_DEP_1) | instskip(NEXT) | instid1(VALU_DEP_1)
	v_mul_hi_u32 v7, v4, v7
	v_add_nc_u32_e32 v4, v4, v7
	s_delay_alu instid0(VALU_DEP_1) | instskip(NEXT) | instid1(VALU_DEP_1)
	v_mul_hi_u32 v4, v5, v4
	v_mul_lo_u32 v7, v4, s18
	v_add_nc_u32_e32 v8, 1, v4
	s_delay_alu instid0(VALU_DEP_2) | instskip(NEXT) | instid1(VALU_DEP_1)
	v_sub_nc_u32_e32 v7, v5, v7
	v_subrev_nc_u32_e32 v9, s18, v7
	v_cmp_le_u32_e32 vcc_lo, s18, v7
	s_wait_alu 0xfffd
	s_delay_alu instid0(VALU_DEP_2) | instskip(NEXT) | instid1(VALU_DEP_1)
	v_dual_cndmask_b32 v7, v7, v9 :: v_dual_cndmask_b32 v4, v4, v8
	v_cmp_le_u32_e32 vcc_lo, s18, v7
	s_delay_alu instid0(VALU_DEP_2) | instskip(SKIP_1) | instid1(VALU_DEP_1)
	v_add_nc_u32_e32 v8, 1, v4
	s_wait_alu 0xfffd
	v_dual_cndmask_b32 v7, v4, v8 :: v_dual_mov_b32 v8, v3
.LBB0_6:                                ;   in Loop: Header=BB0_2 Depth=1
	s_wait_alu 0xfffe
	s_or_b32 exec_lo, exec_lo, s2
	s_load_b64 s[20:21], s[12:13], 0x0
	s_delay_alu instid0(VALU_DEP_1)
	v_mul_lo_u32 v4, v8, s18
	v_mul_lo_u32 v11, v7, s19
	v_mad_co_u64_u32 v[9:10], null, v7, s18, 0
	s_add_nc_u64 s[14:15], s[14:15], 1
	s_add_nc_u64 s[12:13], s[12:13], 8
	s_wait_alu 0xfffe
	v_cmp_ge_u64_e64 s2, s[14:15], s[6:7]
	s_add_nc_u64 s[16:17], s[16:17], 8
	s_delay_alu instid0(VALU_DEP_2) | instskip(NEXT) | instid1(VALU_DEP_3)
	v_add3_u32 v4, v10, v11, v4
	v_sub_co_u32 v5, vcc_lo, v5, v9
	s_wait_alu 0xfffd
	s_delay_alu instid0(VALU_DEP_2) | instskip(SKIP_3) | instid1(VALU_DEP_2)
	v_sub_co_ci_u32_e32 v4, vcc_lo, v6, v4, vcc_lo
	s_and_b32 vcc_lo, exec_lo, s2
	s_wait_kmcnt 0x0
	v_mul_lo_u32 v6, s21, v5
	v_mul_lo_u32 v4, s20, v4
	v_mad_co_u64_u32 v[1:2], null, s20, v5, v[1:2]
	s_delay_alu instid0(VALU_DEP_1)
	v_add3_u32 v2, v6, v2, v4
	s_wait_alu 0xfffe
	s_cbranch_vccnz .LBB0_9
; %bb.7:                                ;   in Loop: Header=BB0_2 Depth=1
	v_dual_mov_b32 v5, v7 :: v_dual_mov_b32 v6, v8
	s_branch .LBB0_2
.LBB0_8:
	v_dual_mov_b32 v8, v6 :: v_dual_mov_b32 v7, v5
.LBB0_9:
	s_lshl_b64 s[2:3], s[6:7], 3
	v_mul_hi_u32 v5, 0x4444445, v0
	s_wait_alu 0xfffe
	s_add_nc_u64 s[2:3], s[10:11], s[2:3]
	s_load_b64 s[2:3], s[2:3], 0x0
	s_load_b64 s[0:1], s[0:1], 0x20
	s_wait_kmcnt 0x0
	v_mul_lo_u32 v3, s2, v8
	v_mul_lo_u32 v4, s3, v7
	v_mad_co_u64_u32 v[1:2], null, s2, v7, v[1:2]
	v_cmp_gt_u64_e32 vcc_lo, s[0:1], v[7:8]
	s_delay_alu instid0(VALU_DEP_2) | instskip(SKIP_1) | instid1(VALU_DEP_2)
	v_add3_u32 v2, v4, v2, v3
	v_mul_u32_u24_e32 v3, 60, v5
	v_lshlrev_b64_e32 v[1:2], 4, v[1:2]
	s_delay_alu instid0(VALU_DEP_2)
	v_sub_nc_u32_e32 v176, v0, v3
	scratch_store_b64 off, v[1:2], off      ; 8-byte Folded Spill
	s_and_saveexec_b32 s1, vcc_lo
	s_cbranch_execz .LBB0_13
; %bb.10:
	scratch_load_b64 v[0:1], off, off       ; 8-byte Folded Reload
	v_mov_b32_e32 v177, 0
	v_lshl_add_u32 v146, v176, 4, 0
	s_delay_alu instid0(VALU_DEP_2) | instskip(SKIP_4) | instid1(VALU_DEP_2)
	v_lshlrev_b64_e32 v[2:3], 4, v[176:177]
	s_wait_loadcnt 0x0
	v_add_co_u32 v0, s0, s8, v0
	s_wait_alu 0xf1ff
	v_add_co_ci_u32_e64 v1, s0, s9, v1, s0
	v_add_co_u32 v142, s0, v0, v2
	s_wait_alu 0xf1ff
	s_delay_alu instid0(VALU_DEP_2)
	v_add_co_ci_u32_e64 v143, s0, v1, v3, s0
	v_cmp_eq_u32_e64 s0, 59, v176
	s_clause 0x1f
	global_load_b128 v[2:5], v[142:143], off offset:960
	global_load_b128 v[6:9], v[142:143], off offset:1920
	;; [unrolled: 1-line block ×32, first 2 shown]
	s_clause 0x3
	global_load_b128 v[130:133], v[142:143], off offset:31680
	global_load_b128 v[134:137], v[142:143], off offset:32640
	global_load_b128 v[138:141], v[142:143], off
	global_load_b128 v[142:145], v[142:143], off offset:33600
	s_wait_loadcnt 0x23
	ds_store_b128 v146, v[2:5] offset:960
	s_wait_loadcnt 0x22
	ds_store_b128 v146, v[6:9] offset:1920
	;; [unrolled: 2-line block ×34, first 2 shown]
	s_wait_loadcnt 0x1
	ds_store_b128 v146, v[138:141]
	s_wait_loadcnt 0x0
	ds_store_b128 v146, v[142:145] offset:33600
	s_and_saveexec_b32 s2, s0
	s_cbranch_execz .LBB0_12
; %bb.11:
	global_load_b128 v[0:3], v[0:1], off offset:34560
	v_mov_b32_e32 v176, 59
	s_wait_loadcnt 0x0
	ds_store_b128 v177, v[0:3] offset:34560
.LBB0_12:
	s_wait_alu 0xfffe
	s_or_b32 exec_lo, exec_lo, s2
.LBB0_13:
	s_wait_alu 0xfffe
	s_or_b32 exec_lo, exec_lo, s1
	v_lshlrev_b32_e32 v0, 4, v176
	global_wb scope:SCOPE_SE
	s_wait_storecnt_dscnt 0x0
	s_barrier_signal -1
	s_barrier_wait -1
	global_inv scope:SCOPE_SE
	v_add_nc_u32_e32 v222, 0, v0
	v_sub_nc_u32_e32 v10, 0, v0
	s_mov_b32 s1, exec_lo
                                        ; implicit-def: $vgpr4_vgpr5
	ds_load_b64 v[6:7], v222
	ds_load_b64 v[8:9], v10 offset:34560
	s_wait_dscnt 0x0
	v_add_f64_e32 v[0:1], v[6:7], v[8:9]
	v_add_f64_e64 v[2:3], v[6:7], -v[8:9]
	v_cmpx_ne_u32_e32 0, v176
	s_wait_alu 0xfffe
	s_xor_b32 s1, exec_lo, s1
	s_cbranch_execz .LBB0_15
; %bb.14:
	v_mov_b32_e32 v177, 0
	v_add_f64_e32 v[13:14], v[6:7], v[8:9]
	v_add_f64_e64 v[15:16], v[6:7], -v[8:9]
	s_delay_alu instid0(VALU_DEP_3) | instskip(NEXT) | instid1(VALU_DEP_1)
	v_lshlrev_b64_e32 v[0:1], 4, v[176:177]
	v_add_co_u32 v0, s0, s4, v0
	s_wait_alu 0xf1ff
	s_delay_alu instid0(VALU_DEP_2)
	v_add_co_ci_u32_e64 v1, s0, s5, v1, s0
	global_load_b128 v[2:5], v[0:1], off offset:34400
	ds_load_b64 v[0:1], v10 offset:34568
	ds_load_b64 v[11:12], v222 offset:8
	s_wait_dscnt 0x0
	v_add_f64_e32 v[6:7], v[0:1], v[11:12]
	v_add_f64_e64 v[0:1], v[11:12], -v[0:1]
	s_wait_loadcnt 0x0
	v_fma_f64 v[8:9], v[15:16], v[4:5], v[13:14]
	v_fma_f64 v[11:12], -v[15:16], v[4:5], v[13:14]
	s_delay_alu instid0(VALU_DEP_3) | instskip(SKIP_1) | instid1(VALU_DEP_4)
	v_fma_f64 v[13:14], v[6:7], v[4:5], -v[0:1]
	v_fma_f64 v[4:5], v[6:7], v[4:5], v[0:1]
	v_fma_f64 v[0:1], -v[6:7], v[2:3], v[8:9]
	s_delay_alu instid0(VALU_DEP_4) | instskip(NEXT) | instid1(VALU_DEP_4)
	v_fma_f64 v[6:7], v[6:7], v[2:3], v[11:12]
	v_fma_f64 v[8:9], v[15:16], v[2:3], v[13:14]
	s_delay_alu instid0(VALU_DEP_4)
	v_fma_f64 v[2:3], v[15:16], v[2:3], v[4:5]
	v_dual_mov_b32 v4, v176 :: v_dual_mov_b32 v5, v177
	ds_store_b128 v10, v[6:9] offset:34560
.LBB0_15:
	s_wait_alu 0xfffe
	s_and_not1_saveexec_b32 s0, s1
	s_cbranch_execz .LBB0_17
; %bb.16:
	v_mov_b32_e32 v8, 0
	ds_load_b128 v[4:7], v8 offset:17280
	s_wait_dscnt 0x0
	v_add_f64_e32 v[11:12], v[4:5], v[4:5]
	v_mul_f64_e32 v[13:14], -2.0, v[6:7]
	v_mov_b32_e32 v4, 0
	v_mov_b32_e32 v5, 0
	ds_store_b128 v8, v[11:14] offset:17280
.LBB0_17:
	s_wait_alu 0xfffe
	s_or_b32 exec_lo, exec_lo, s0
	v_lshlrev_b64_e32 v[4:5], 4, v[4:5]
	s_add_nc_u64 s[0:1], s[4:5], 0x8660
	s_mov_b32 s2, 0x134454ff
	s_mov_b32 s3, 0x3fee6f0e
	;; [unrolled: 1-line block ×4, first 2 shown]
	s_wait_alu 0xfffe
	v_add_co_u32 v4, s0, s0, v4
	s_wait_alu 0xf1ff
	v_add_co_ci_u32_e64 v5, s0, s1, v5, s0
	s_mov_b32 s13, 0xbfee6f0e
	s_mov_b32 s12, s2
	;; [unrolled: 1-line block ×3, first 2 shown]
	s_clause 0x1
	global_load_b128 v[6:9], v[4:5], off offset:960
	global_load_b128 v[11:14], v[4:5], off offset:1920
	ds_store_b128 v222, v[0:3]
	ds_load_b128 v[0:3], v222 offset:960
	ds_load_b128 v[15:18], v10 offset:33600
	global_load_b128 v[19:22], v[4:5], off offset:2880
	s_mov_b32 s11, 0x3fd3c6ef
	s_mov_b32 s15, 0xbfe2cf23
	;; [unrolled: 1-line block ×5, first 2 shown]
	s_mov_b32 s1, exec_lo
	s_wait_dscnt 0x0
	v_add_f64_e32 v[23:24], v[0:1], v[15:16]
	v_add_f64_e32 v[25:26], v[17:18], v[2:3]
	v_add_f64_e64 v[27:28], v[0:1], -v[15:16]
	v_add_f64_e64 v[0:1], v[2:3], -v[17:18]
	s_wait_loadcnt 0x2
	s_delay_alu instid0(VALU_DEP_2) | instskip(NEXT) | instid1(VALU_DEP_2)
	v_fma_f64 v[2:3], v[27:28], v[8:9], v[23:24]
	v_fma_f64 v[15:16], v[25:26], v[8:9], v[0:1]
	v_fma_f64 v[17:18], -v[27:28], v[8:9], v[23:24]
	v_fma_f64 v[8:9], v[25:26], v[8:9], -v[0:1]
	s_delay_alu instid0(VALU_DEP_4) | instskip(NEXT) | instid1(VALU_DEP_4)
	v_fma_f64 v[0:1], -v[25:26], v[6:7], v[2:3]
	v_fma_f64 v[2:3], v[27:28], v[6:7], v[15:16]
	s_delay_alu instid0(VALU_DEP_4) | instskip(NEXT) | instid1(VALU_DEP_4)
	v_fma_f64 v[15:16], v[25:26], v[6:7], v[17:18]
	v_fma_f64 v[17:18], v[27:28], v[6:7], v[8:9]
	ds_store_b128 v222, v[0:3] offset:960
	ds_store_b128 v10, v[15:18] offset:33600
	ds_load_b128 v[0:3], v222 offset:1920
	ds_load_b128 v[6:9], v10 offset:32640
	global_load_b128 v[15:18], v[4:5], off offset:3840
	s_wait_dscnt 0x0
	v_add_f64_e32 v[23:24], v[0:1], v[6:7]
	v_add_f64_e32 v[25:26], v[8:9], v[2:3]
	v_add_f64_e64 v[27:28], v[0:1], -v[6:7]
	v_add_f64_e64 v[0:1], v[2:3], -v[8:9]
	s_wait_loadcnt 0x2
	s_delay_alu instid0(VALU_DEP_2) | instskip(NEXT) | instid1(VALU_DEP_2)
	v_fma_f64 v[2:3], v[27:28], v[13:14], v[23:24]
	v_fma_f64 v[6:7], v[25:26], v[13:14], v[0:1]
	v_fma_f64 v[8:9], -v[27:28], v[13:14], v[23:24]
	v_fma_f64 v[13:14], v[25:26], v[13:14], -v[0:1]
	s_delay_alu instid0(VALU_DEP_4) | instskip(NEXT) | instid1(VALU_DEP_4)
	v_fma_f64 v[0:1], -v[25:26], v[11:12], v[2:3]
	v_fma_f64 v[2:3], v[27:28], v[11:12], v[6:7]
	s_delay_alu instid0(VALU_DEP_4) | instskip(NEXT) | instid1(VALU_DEP_4)
	v_fma_f64 v[6:7], v[25:26], v[11:12], v[8:9]
	v_fma_f64 v[8:9], v[27:28], v[11:12], v[13:14]
	ds_store_b128 v222, v[0:3] offset:1920
	ds_store_b128 v10, v[6:9] offset:32640
	ds_load_b128 v[0:3], v222 offset:2880
	ds_load_b128 v[6:9], v10 offset:31680
	global_load_b128 v[11:14], v[4:5], off offset:4800
	;; [unrolled: 22-line block ×14, first 2 shown]
	s_wait_dscnt 0x0
	v_add_f64_e32 v[4:5], v[0:1], v[6:7]
	v_add_f64_e32 v[23:24], v[8:9], v[2:3]
	v_add_f64_e64 v[6:7], v[0:1], -v[6:7]
	v_add_f64_e64 v[0:1], v[2:3], -v[8:9]
	s_wait_loadcnt 0x2
	s_delay_alu instid0(VALU_DEP_2) | instskip(NEXT) | instid1(VALU_DEP_2)
	v_fma_f64 v[2:3], v[6:7], v[21:22], v[4:5]
	v_fma_f64 v[8:9], v[23:24], v[21:22], v[0:1]
	v_fma_f64 v[4:5], -v[6:7], v[21:22], v[4:5]
	v_fma_f64 v[21:22], v[23:24], v[21:22], -v[0:1]
	s_delay_alu instid0(VALU_DEP_4) | instskip(NEXT) | instid1(VALU_DEP_4)
	v_fma_f64 v[0:1], -v[23:24], v[19:20], v[2:3]
	v_fma_f64 v[2:3], v[6:7], v[19:20], v[8:9]
	s_delay_alu instid0(VALU_DEP_4) | instskip(NEXT) | instid1(VALU_DEP_4)
	v_fma_f64 v[4:5], v[23:24], v[19:20], v[4:5]
	v_fma_f64 v[6:7], v[6:7], v[19:20], v[21:22]
	ds_store_b128 v222, v[0:3] offset:14400
	ds_store_b128 v10, v[4:7] offset:20160
	ds_load_b128 v[0:3], v222 offset:15360
	ds_load_b128 v[4:7], v10 offset:19200
	s_wait_dscnt 0x0
	v_add_f64_e32 v[8:9], v[0:1], v[4:5]
	v_add_f64_e32 v[19:20], v[6:7], v[2:3]
	v_add_f64_e64 v[21:22], v[0:1], -v[4:5]
	v_add_f64_e64 v[0:1], v[2:3], -v[6:7]
	s_wait_loadcnt 0x1
	s_delay_alu instid0(VALU_DEP_2) | instskip(NEXT) | instid1(VALU_DEP_2)
	v_fma_f64 v[2:3], v[21:22], v[17:18], v[8:9]
	v_fma_f64 v[4:5], v[19:20], v[17:18], v[0:1]
	v_fma_f64 v[6:7], -v[21:22], v[17:18], v[8:9]
	v_fma_f64 v[8:9], v[19:20], v[17:18], -v[0:1]
	s_delay_alu instid0(VALU_DEP_4) | instskip(NEXT) | instid1(VALU_DEP_4)
	v_fma_f64 v[0:1], -v[19:20], v[15:16], v[2:3]
	v_fma_f64 v[2:3], v[21:22], v[15:16], v[4:5]
	s_delay_alu instid0(VALU_DEP_4) | instskip(NEXT) | instid1(VALU_DEP_4)
	v_fma_f64 v[4:5], v[19:20], v[15:16], v[6:7]
	v_fma_f64 v[6:7], v[21:22], v[15:16], v[8:9]
	ds_store_b128 v222, v[0:3] offset:15360
	ds_store_b128 v10, v[4:7] offset:19200
	ds_load_b128 v[0:3], v222 offset:16320
	ds_load_b128 v[4:7], v10 offset:18240
	s_wait_dscnt 0x0
	v_add_f64_e32 v[8:9], v[0:1], v[4:5]
	v_add_f64_e32 v[15:16], v[6:7], v[2:3]
	v_add_f64_e64 v[17:18], v[0:1], -v[4:5]
	v_add_f64_e64 v[0:1], v[2:3], -v[6:7]
	s_wait_loadcnt 0x0
	s_delay_alu instid0(VALU_DEP_2) | instskip(NEXT) | instid1(VALU_DEP_2)
	v_fma_f64 v[2:3], v[17:18], v[13:14], v[8:9]
	v_fma_f64 v[4:5], v[15:16], v[13:14], v[0:1]
	v_fma_f64 v[6:7], -v[17:18], v[13:14], v[8:9]
	v_fma_f64 v[8:9], v[15:16], v[13:14], -v[0:1]
	s_delay_alu instid0(VALU_DEP_4) | instskip(NEXT) | instid1(VALU_DEP_4)
	v_fma_f64 v[0:1], -v[15:16], v[11:12], v[2:3]
	v_fma_f64 v[2:3], v[17:18], v[11:12], v[4:5]
	s_delay_alu instid0(VALU_DEP_4) | instskip(NEXT) | instid1(VALU_DEP_4)
	v_fma_f64 v[4:5], v[15:16], v[11:12], v[6:7]
	v_fma_f64 v[6:7], v[17:18], v[11:12], v[8:9]
	ds_store_b128 v222, v[0:3] offset:16320
	ds_store_b128 v10, v[4:7] offset:18240
	global_wb scope:SCOPE_SE
	s_wait_dscnt 0x0
	s_barrier_signal -1
	s_barrier_wait -1
	global_inv scope:SCOPE_SE
	global_wb scope:SCOPE_SE
	s_barrier_signal -1
	s_barrier_wait -1
	global_inv scope:SCOPE_SE
	ds_load_b128 v[8:11], v222 offset:6912
	ds_load_b128 v[0:3], v222
	ds_load_b128 v[4:7], v222 offset:960
	ds_load_b128 v[12:15], v222 offset:7872
	;; [unrolled: 1-line block ×6, first 2 shown]
	s_wait_dscnt 0x6
	v_add_f64_e32 v[28:29], v[0:1], v[8:9]
	s_wait_dscnt 0x3
	v_add_f64_e64 v[36:37], v[8:9], -v[16:17]
	s_wait_dscnt 0x2
	v_add_f64_e32 v[183:184], v[16:17], v[20:21]
	v_add_f64_e64 v[62:63], v[16:17], -v[20:21]
	v_add_f64_e32 v[30:31], v[2:3], v[10:11]
	v_add_f64_e64 v[60:61], v[18:19], -v[22:23]
	s_wait_dscnt 0x0
	v_add_f64_e32 v[102:103], v[24:25], v[32:33]
	v_add_f64_e64 v[148:149], v[26:27], -v[34:35]
	v_add_f64_e32 v[100:101], v[26:27], v[34:35]
	v_add_f64_e64 v[146:147], v[24:25], -v[32:33]
	v_add_f64_e64 v[128:129], v[14:15], -v[26:27]
	v_add_f64_e32 v[28:29], v[28:29], v[16:17]
	scratch_store_b64 off, v[36:37], off offset:24 ; 8-byte Folded Spill
	v_add_f64_e64 v[36:37], v[16:17], -v[8:9]
	v_add_f64_e64 v[16:17], v[10:11], -v[18:19]
	v_add_f64_e32 v[30:31], v[30:31], v[18:19]
	v_fma_f64 v[102:103], v[102:103], -0.5, v[4:5]
	v_fma_f64 v[100:101], v[100:101], -0.5, v[6:7]
	scratch_store_b64 off, v[16:17], off offset:32 ; 8-byte Folded Spill
	v_add_f64_e64 v[16:17], v[18:19], -v[10:11]
	scratch_store_b64 off, v[36:37], off offset:8 ; 8-byte Folded Spill
	v_add_f64_e32 v[36:37], v[18:19], v[22:23]
	s_clause 0x1
	scratch_store_b64 off, v[16:17], off offset:16
	scratch_store_b64 off, v[36:37], off offset:56
	ds_load_b128 v[16:19], v222 offset:27648
	ds_load_b128 v[36:39], v222 offset:28608
	s_wait_dscnt 0x1
	v_add_f64_e32 v[132:133], v[8:9], v[16:17]
	v_add_f64_e64 v[66:67], v[8:9], -v[16:17]
	v_add_f64_e32 v[8:9], v[28:29], v[20:21]
	v_add_f64_e64 v[28:29], v[16:17], -v[20:21]
	v_add_f64_e64 v[20:21], v[20:21], -v[16:17]
	;; [unrolled: 1-line block ×3, first 2 shown]
	v_add_f64_e32 v[134:135], v[10:11], v[18:19]
	v_add_f64_e32 v[10:11], v[30:31], v[22:23]
	s_wait_dscnt 0x0
	v_add_f64_e32 v[84:85], v[12:13], v[36:37]
	v_add_f64_e64 v[130:131], v[12:13], -v[36:37]
	v_add_f64_e64 v[144:145], v[14:15], -v[38:39]
	v_add_f64_e32 v[86:87], v[14:15], v[38:39]
	v_add_f64_e64 v[138:139], v[36:37], -v[32:33]
	v_add_f64_e64 v[122:123], v[38:39], -v[34:35]
	v_fma_f64 v[132:133], v[132:133], -0.5, v[0:1]
	v_add_f64_e32 v[116:117], v[8:9], v[16:17]
	s_clause 0x1
	scratch_store_b64 off, v[28:29], off offset:72
	scratch_store_b64 off, v[20:21], off offset:40
	v_add_f64_e64 v[20:21], v[18:19], -v[22:23]
	v_fma_f64 v[134:135], v[134:135], -0.5, v[2:3]
	v_add_f64_e32 v[118:119], v[10:11], v[18:19]
	scratch_store_b64 off, v[20:21], off offset:80 ; 8-byte Folded Spill
	v_add_f64_e64 v[20:21], v[22:23], -v[18:19]
	scratch_store_b64 off, v[20:21], off offset:48 ; 8-byte Folded Spill
	ds_load_b128 v[8:11], v222 offset:10368
	ds_load_b128 v[28:31], v222 offset:3456
	;; [unrolled: 1-line block ×6, first 2 shown]
	s_wait_dscnt 0x4
	v_add_f64_e32 v[48:49], v[28:29], v[8:9]
	s_wait_dscnt 0x1
	v_add_f64_e64 v[156:157], v[8:9], -v[20:21]
	v_add_f64_e64 v[142:143], v[20:21], -v[8:9]
	;; [unrolled: 1-line block ×4, first 2 shown]
	s_wait_dscnt 0x0
	v_add_f64_e64 v[110:111], v[16:17], -v[44:45]
	v_add_f64_e64 v[150:151], v[18:19], -v[46:47]
	v_add_f64_e32 v[72:73], v[48:49], v[20:21]
	v_add_f64_e32 v[48:49], v[30:31], v[10:11]
	s_delay_alu instid0(VALU_DEP_1)
	v_add_f64_e32 v[74:75], v[48:49], v[22:23]
	ds_load_b128 v[48:51], v222 offset:24192
	ds_load_b128 v[52:55], v222 offset:25152
	s_wait_dscnt 0x1
	v_add_f64_e32 v[164:165], v[20:21], v[48:49]
	v_add_f64_e64 v[96:97], v[22:23], -v[50:51]
	v_add_f64_e32 v[166:167], v[22:23], v[50:51]
	v_add_f64_e64 v[98:99], v[20:21], -v[48:49]
	ds_load_b128 v[20:23], v222 offset:31104
	ds_load_b128 v[56:59], v222 offset:32064
	s_wait_dscnt 0x2
	v_add_f64_e32 v[198:199], v[44:45], v[52:53]
	v_add_f64_e64 v[78:79], v[46:47], -v[54:55]
	v_add_f64_e32 v[194:195], v[46:47], v[54:55]
	v_add_f64_e64 v[76:77], v[44:45], -v[52:53]
	s_wait_dscnt 0x1
	v_add_f64_e64 v[126:127], v[10:11], -v[22:23]
	v_add_f64_e32 v[106:107], v[8:9], v[20:21]
	v_add_f64_e64 v[124:125], v[8:9], -v[20:21]
	v_add_f64_e32 v[108:109], v[10:11], v[22:23]
	v_add_f64_e32 v[8:9], v[72:73], v[48:49]
	;; [unrolled: 1-line block ×3, first 2 shown]
	v_add_f64_e64 v[168:169], v[20:21], -v[48:49]
	v_add_f64_e64 v[160:161], v[48:49], -v[20:21]
	;; [unrolled: 1-line block ×4, first 2 shown]
	s_wait_dscnt 0x0
	v_add_f64_e64 v[72:73], v[18:19], -v[58:59]
	v_add_f64_e32 v[80:81], v[16:17], v[56:57]
	v_add_f64_e64 v[74:75], v[16:17], -v[56:57]
	v_add_f64_e32 v[82:83], v[18:19], v[58:59]
	v_add_f64_e64 v[152:153], v[56:57], -v[52:53]
	v_add_f64_e64 v[136:137], v[52:53], -v[56:57]
	;; [unrolled: 1-line block ×4, first 2 shown]
	v_fma_f64 v[164:165], v[164:165], -0.5, v[28:29]
	v_fma_f64 v[166:167], v[166:167], -0.5, v[30:31]
	;; [unrolled: 1-line block ×6, first 2 shown]
	v_add_f64_e32 v[114:115], v[8:9], v[20:21]
	v_add_f64_e32 v[70:71], v[10:11], v[22:23]
	;; [unrolled: 1-line block ×4, first 2 shown]
	v_add_f64_e64 v[20:21], v[12:13], -v[24:25]
	v_fma_f64 v[108:109], v[198:199], -0.5, v[40:41]
	v_add_f64_e32 v[168:169], v[156:157], v[168:169]
	v_fma_f64 v[198:199], v[80:81], -0.5, v[40:41]
	v_add_f64_e32 v[170:171], v[158:159], v[170:171]
	v_add_f64_e32 v[112:113], v[112:113], v[162:163]
	;; [unrolled: 1-line block ×3, first 2 shown]
	v_fma_f64 v[5:6], v[86:87], -0.5, v[6:7]
	v_add_f64_e32 v[152:153], v[110:111], v[152:153]
	v_add_f64_e32 v[150:151], v[150:151], v[154:155]
	;; [unrolled: 1-line block ×4, first 2 shown]
	scratch_store_b64 off, v[20:21], off offset:120 ; 8-byte Folded Spill
	v_add_f64_e64 v[20:21], v[24:25], -v[12:13]
	v_add_f64_e64 v[12:13], v[32:33], -v[36:37]
	v_add_f64_e32 v[8:9], v[8:9], v[32:33]
	v_add_f64_e32 v[10:11], v[10:11], v[34:35]
	s_clause 0x1
	scratch_store_b64 off, v[20:21], off offset:64
	scratch_store_b64 off, v[12:13], off offset:96
	v_add_f64_e64 v[20:21], v[26:27], -v[14:15]
	v_add_f64_e64 v[12:13], v[34:35], -v[38:39]
	v_add_f64_e32 v[120:121], v[8:9], v[36:37]
	v_add_f64_e32 v[68:69], v[10:11], v[38:39]
	;; [unrolled: 1-line block ×4, first 2 shown]
	s_clause 0x1
	scratch_store_b64 off, v[20:21], off offset:88
	scratch_store_b64 off, v[12:13], off offset:104
	v_add_f64_e64 v[12:13], v[44:45], -v[16:17]
	v_add_f64_e32 v[8:9], v[8:9], v[44:45]
	v_add_f64_e32 v[10:11], v[10:11], v[46:47]
	scratch_store_b64 off, v[12:13], off offset:112 ; 8-byte Folded Spill
	v_add_f64_e64 v[12:13], v[46:47], -v[18:19]
	v_add_f64_e32 v[8:9], v[8:9], v[52:53]
	v_add_f64_e32 v[10:11], v[10:11], v[54:55]
	scratch_store_b64 off, v[12:13], off offset:128 ; 8-byte Folded Spill
	v_add_f64_e32 v[196:197], v[8:9], v[56:57]
	v_add_f64_e32 v[200:201], v[10:11], v[58:59]
	ds_load_b128 v[24:27], v222 offset:8832
	ds_load_b128 v[56:59], v222 offset:1920
	;; [unrolled: 1-line block ×6, first 2 shown]
	s_wait_dscnt 0x4
	v_add_f64_e32 v[12:13], v[56:57], v[24:25]
	s_wait_dscnt 0x1
	v_add_f64_e64 v[185:186], v[24:25], -v[8:9]
	v_add_f64_e64 v[206:207], v[8:9], -v[24:25]
	;; [unrolled: 1-line block ×4, first 2 shown]
	v_add_f64_e32 v[48:49], v[12:13], v[8:9]
	v_add_f64_e32 v[12:13], v[58:59], v[26:27]
	s_delay_alu instid0(VALU_DEP_1)
	v_add_f64_e32 v[50:51], v[12:13], v[10:11]
	ds_load_b128 v[32:35], v222 offset:22656
	ds_load_b128 v[12:15], v222 offset:23616
	s_wait_dscnt 0x1
	v_add_f64_e32 v[220:221], v[8:9], v[32:33]
	v_add_f64_e64 v[227:228], v[10:11], -v[34:35]
	v_add_f64_e32 v[233:234], v[10:11], v[34:35]
	v_add_f64_e64 v[235:236], v[8:9], -v[32:33]
	ds_load_b128 v[44:47], v222 offset:29568
	ds_load_b128 v[8:11], v222 offset:30528
	s_wait_dscnt 0x1
	v_add_f64_e64 v[241:242], v[26:27], -v[46:47]
	v_add_f64_e32 v[243:244], v[24:25], v[44:45]
	v_add_f64_e64 v[245:246], v[24:25], -v[44:45]
	v_add_f64_e32 v[247:248], v[26:27], v[46:47]
	v_add_f64_e32 v[24:25], v[48:49], v[32:33]
	;; [unrolled: 1-line block ×3, first 2 shown]
	ds_load_b128 v[208:211], v222 offset:12288
	ds_load_b128 v[212:215], v222 offset:5376
	;; [unrolled: 1-line block ×4, first 2 shown]
	v_add_f64_e64 v[249:250], v[44:45], -v[32:33]
	v_add_f64_e64 v[251:252], v[32:33], -v[44:45]
	;; [unrolled: 1-line block ×4, first 2 shown]
	v_fma_f64 v[220:221], v[220:221], -0.5, v[56:57]
	v_fma_f64 v[233:234], v[233:234], -0.5, v[58:59]
	s_wait_dscnt 0x2
	v_add_f64_e32 v[32:33], v[212:213], v[208:209]
	v_fma_f64 v[243:244], v[243:244], -0.5, v[56:57]
	v_add_f64_e32 v[56:57], v[120:121], v[196:197]
	v_fma_f64 v[247:248], v[247:248], -0.5, v[58:59]
	v_add_f64_e32 v[36:37], v[24:25], v[44:45]
	v_add_f64_e32 v[38:39], v[26:27], v[46:47]
	ds_load_b128 v[24:27], v222 offset:19200
	ds_load_b128 v[44:47], v222 offset:20160
	v_add_f64_e32 v[58:59], v[68:69], v[200:201]
	s_wait_dscnt 0x1
	v_add_f64_e32 v[179:180], v[32:33], v[24:25]
	v_add_f64_e32 v[32:33], v[214:215], v[210:211]
	v_add_f64_e64 v[94:95], v[208:209], -v[24:25]
	v_add_f64_e64 v[174:175], v[24:25], -v[208:209]
	v_add_f64_e64 v[92:93], v[210:211], -v[26:27]
	v_add_f64_e64 v[104:105], v[26:27], -v[210:211]
	v_add_f64_e32 v[188:189], v[32:33], v[26:27]
	ds_load_b128 v[216:219], v222 offset:26112
	ds_load_b128 v[32:35], v222 offset:27072
	s_wait_dscnt 0x1
	v_add_f64_e32 v[179:180], v[179:180], v[216:217]
	v_add_f64_e32 v[190:191], v[24:25], v[216:217]
	v_add_f64_e64 v[192:193], v[26:27], -v[218:219]
	v_add_f64_e32 v[202:203], v[26:27], v[218:219]
	v_add_f64_e64 v[204:205], v[24:25], -v[216:217]
	ds_load_b128 v[223:226], v222 offset:33024
	ds_load_b128 v[24:27], v222 offset:33984
	v_add_f64_e32 v[187:188], v[188:189], v[218:219]
	s_wait_dscnt 0x1
	v_add_f64_e32 v[181:182], v[208:209], v[223:224]
	v_add_f64_e64 v[208:209], v[208:209], -v[223:224]
	v_add_f64_e64 v[90:91], v[223:224], -v[216:217]
	;; [unrolled: 1-line block ×4, first 2 shown]
	v_add_f64_e32 v[210:211], v[210:211], v[225:226]
	v_add_f64_e64 v[88:89], v[225:226], -v[218:219]
	v_add_f64_e64 v[218:219], v[218:219], -v[225:226]
	v_add_f64_e32 v[179:180], v[179:180], v[223:224]
	v_fma_f64 v[223:224], v[183:184], -0.5, v[0:1]
	scratch_load_b64 v[0:1], off, off offset:56 th:TH_LOAD_LU ; 8-byte Folded Reload
	v_fma_f64 v[183:184], v[82:83], -0.5, v[42:43]
	v_fma_f64 v[189:190], v[190:191], -0.5, v[212:213]
	;; [unrolled: 1-line block ×3, first 2 shown]
	v_add_f64_e32 v[187:188], v[187:188], v[225:226]
	v_fma_f64 v[181:182], v[181:182], -0.5, v[212:213]
	v_add_f64_e64 v[212:213], v[118:119], -v[70:71]
	v_fma_f64 v[42:43], v[210:211], -0.5, v[214:215]
	v_add_f64_e64 v[210:211], v[116:117], -v[114:115]
	v_add_f64_e32 v[104:105], v[104:105], v[218:219]
	v_add_f64_e32 v[202:203], v[38:39], v[187:188]
	s_wait_loadcnt 0x0
	v_fma_f64 v[225:226], v[0:1], -0.5, v[2:3]
	v_add_f64_e32 v[1:2], v[116:117], v[114:115]
	v_add_f64_e32 v[3:4], v[118:119], v[70:71]
	v_add_f64_e64 v[114:115], v[120:121], -v[196:197]
	v_add_f64_e64 v[116:117], v[68:69], -v[200:201]
	v_add_f64_e32 v[200:201], v[36:37], v[179:180]
	v_add_f64_e64 v[118:119], v[36:37], -v[179:180]
	v_add_f64_e64 v[120:121], v[38:39], -v[187:188]
	s_clause 0x1
	scratch_load_b64 v[36:37], off, off offset:24 th:TH_LOAD_LU
	scratch_load_b64 v[38:39], off, off offset:72 th:TH_LOAD_LU
	v_mul_u32_u24_e32 v0, 10, v176
	s_delay_alu instid0(VALU_DEP_1) | instskip(SKIP_2) | instid1(VALU_DEP_1)
	v_lshl_add_u32 v0, v0, 4, 0
	v_fma_f64 v[70:71], v[66:67], s[12:13], v[225:226]
	s_wait_alu 0xfffe
	v_fma_f64 v[70:71], v[62:63], s[14:15], v[70:71]
	s_wait_loadcnt 0x0
	v_add_f64_e32 v[179:180], v[36:37], v[38:39]
	s_clause 0x1
	scratch_load_b64 v[36:37], off, off offset:32 th:TH_LOAD_LU
	scratch_load_b64 v[38:39], off, off offset:80 th:TH_LOAD_LU
	s_wait_loadcnt 0x0
	v_add_f64_e32 v[187:188], v[36:37], v[38:39]
	v_fma_f64 v[36:37], v[126:127], s[2:3], v[164:165]
	v_fma_f64 v[38:39], v[124:125], s[12:13], v[166:167]
	s_delay_alu instid0(VALU_DEP_3) | instskip(NEXT) | instid1(VALU_DEP_3)
	v_fma_f64 v[70:71], v[187:188], s[10:11], v[70:71]
	v_fma_f64 v[36:37], v[96:97], s[6:7], v[36:37]
	s_delay_alu instid0(VALU_DEP_3) | instskip(NEXT) | instid1(VALU_DEP_2)
	v_fma_f64 v[38:39], v[98:99], s[14:15], v[38:39]
	v_fma_f64 v[36:37], v[168:169], s[10:11], v[36:37]
	s_delay_alu instid0(VALU_DEP_2) | instskip(NEXT) | instid1(VALU_DEP_2)
	v_fma_f64 v[38:39], v[170:171], s[10:11], v[38:39]
	v_mul_f64_e32 v[68:69], s[16:17], v[36:37]
	v_mul_f64_e32 v[36:37], s[14:15], v[36:37]
	s_delay_alu instid0(VALU_DEP_2) | instskip(NEXT) | instid1(VALU_DEP_2)
	v_fma_f64 v[68:69], v[38:39], s[6:7], v[68:69]
	v_fma_f64 v[38:39], v[38:39], s[16:17], v[36:37]
	;; [unrolled: 1-line block ×3, first 2 shown]
	s_delay_alu instid0(VALU_DEP_2) | instskip(NEXT) | instid1(VALU_DEP_2)
	v_add_f64_e32 v[82:83], v[70:71], v[38:39]
	v_fma_f64 v[36:37], v[60:61], s[6:7], v[36:37]
	v_add_f64_e64 v[38:39], v[70:71], -v[38:39]
	s_delay_alu instid0(VALU_DEP_2) | instskip(NEXT) | instid1(VALU_DEP_1)
	v_fma_f64 v[36:37], v[179:180], s[10:11], v[36:37]
	v_add_f64_e32 v[80:81], v[36:37], v[68:69]
	v_add_f64_e64 v[36:37], v[36:37], -v[68:69]
	s_clause 0x1
	scratch_load_b64 v[68:69], off, off offset:8 th:TH_LOAD_LU
	scratch_load_b64 v[70:71], off, off offset:40 th:TH_LOAD_LU
	s_wait_loadcnt 0x0
	v_add_f64_e32 v[156:157], v[68:69], v[70:71]
	s_clause 0x1
	scratch_load_b64 v[68:69], off, off offset:16 th:TH_LOAD_LU
	scratch_load_b64 v[70:71], off, off offset:48 th:TH_LOAD_LU
	s_wait_loadcnt 0x0
	v_add_f64_e32 v[158:159], v[68:69], v[70:71]
	v_fma_f64 v[68:69], v[98:99], s[2:3], v[30:31]
	v_fma_f64 v[70:71], v[96:97], s[12:13], v[28:29]
	;; [unrolled: 1-line block ×4, first 2 shown]
	s_delay_alu instid0(VALU_DEP_4) | instskip(NEXT) | instid1(VALU_DEP_4)
	v_fma_f64 v[68:69], v[124:125], s[14:15], v[68:69]
	v_fma_f64 v[70:71], v[126:127], s[6:7], v[70:71]
	s_delay_alu instid0(VALU_DEP_4) | instskip(NEXT) | instid1(VALU_DEP_4)
	v_fma_f64 v[28:29], v[126:127], s[14:15], v[28:29]
	v_fma_f64 v[30:31], v[124:125], s[6:7], v[30:31]
	;; [unrolled: 3-line block ×4, first 2 shown]
	s_delay_alu instid0(VALU_DEP_4) | instskip(NEXT) | instid1(VALU_DEP_3)
	v_mul_f64_e32 v[84:85], s[2:3], v[68:69]
	v_mul_f64_e32 v[112:113], s[10:11], v[28:29]
	s_delay_alu instid0(VALU_DEP_2) | instskip(SKIP_1) | instid1(VALU_DEP_3)
	v_fma_f64 v[84:85], v[70:71], s[10:11], v[84:85]
	v_mul_f64_e32 v[70:71], s[12:13], v[70:71]
	v_fma_f64 v[112:113], v[30:31], s[2:3], -v[112:113]
	v_mul_f64_e32 v[30:31], s[10:11], v[30:31]
	s_delay_alu instid0(VALU_DEP_3)
	v_fma_f64 v[86:87], v[68:69], s[10:11], v[70:71]
	v_fma_f64 v[68:69], v[60:61], s[12:13], v[132:133]
	;; [unrolled: 1-line block ×4, first 2 shown]
	v_fma_f64 v[28:29], v[28:29], s[12:13], -v[30:31]
	v_fma_f64 v[30:31], v[64:65], s[12:13], v[223:224]
	v_fma_f64 v[68:69], v[64:65], s[6:7], v[68:69]
	;; [unrolled: 1-line block ×12, first 2 shown]
	v_add_f64_e32 v[68:69], v[160:161], v[84:85]
	v_add_f64_e64 v[84:85], v[160:161], -v[84:85]
	v_fma_f64 v[132:133], v[66:67], s[6:7], v[132:133]
	v_fma_f64 v[66:67], v[124:125], s[2:3], v[166:167]
	v_add_f64_e32 v[70:71], v[162:163], v[86:87]
	v_add_f64_e64 v[86:87], v[162:163], -v[86:87]
	s_delay_alu instid0(VALU_DEP_4) | instskip(NEXT) | instid1(VALU_DEP_4)
	v_fma_f64 v[158:159], v[158:159], s[10:11], v[132:133]
	v_fma_f64 v[62:63], v[98:99], s[6:7], v[66:67]
	;; [unrolled: 1-line block ×4, first 2 shown]
	v_add_f64_e32 v[132:133], v[156:157], v[112:113]
	v_add_f64_e64 v[156:157], v[156:157], -v[112:113]
	v_add_f64_e32 v[134:135], v[158:159], v[28:29]
	v_add_f64_e64 v[158:159], v[158:159], -v[28:29]
	v_fma_f64 v[28:29], v[126:127], s[12:13], v[164:165]
	v_fma_f64 v[60:61], v[170:171], s[10:11], v[62:63]
	v_fma_f64 v[98:99], v[76:77], s[14:15], v[98:99]
	s_delay_alu instid0(VALU_DEP_3) | instskip(SKIP_1) | instid1(VALU_DEP_3)
	v_fma_f64 v[28:29], v[96:97], s[14:15], v[28:29]
	v_fma_f64 v[96:97], v[72:73], s[2:3], v[108:109]
	;; [unrolled: 1-line block ×3, first 2 shown]
	s_delay_alu instid0(VALU_DEP_3) | instskip(NEXT) | instid1(VALU_DEP_3)
	v_fma_f64 v[28:29], v[168:169], s[10:11], v[28:29]
	v_fma_f64 v[96:97], v[78:79], s[6:7], v[96:97]
	s_delay_alu instid0(VALU_DEP_2) | instskip(NEXT) | instid1(VALU_DEP_2)
	v_mul_f64_e32 v[62:63], s[16:17], v[28:29]
	v_fma_f64 v[96:97], v[152:153], s[10:11], v[96:97]
	s_delay_alu instid0(VALU_DEP_2) | instskip(SKIP_1) | instid1(VALU_DEP_3)
	v_fma_f64 v[64:65], v[60:61], s[6:7], -v[62:63]
	v_mul_f64_e32 v[60:61], s[16:17], v[60:61]
	v_mul_f64_e32 v[110:111], s[16:17], v[96:97]
	;; [unrolled: 1-line block ×3, first 2 shown]
	s_delay_alu instid0(VALU_DEP_3) | instskip(NEXT) | instid1(VALU_DEP_3)
	v_fma_f64 v[28:29], v[28:29], s[14:15], -v[60:61]
	v_fma_f64 v[110:111], v[98:99], s[6:7], v[110:111]
	s_delay_alu instid0(VALU_DEP_3)
	v_fma_f64 v[112:113], v[98:99], s[16:17], v[96:97]
	v_fma_f64 v[96:97], v[144:145], s[2:3], v[102:103]
	v_fma_f64 v[98:99], v[130:131], s[12:13], v[100:101]
	v_add_f64_e32 v[60:61], v[30:31], v[64:65]
	v_add_f64_e64 v[64:65], v[30:31], -v[64:65]
	v_add_f64_e32 v[30:31], v[128:129], v[122:123]
	v_fma_f64 v[100:101], v[130:131], s[2:3], v[100:101]
	v_add_f64_e32 v[62:63], v[66:67], v[28:29]
	v_add_f64_e64 v[66:67], v[66:67], -v[28:29]
	scratch_load_b64 v[28:29], off, off offset:120 th:TH_LOAD_LU ; 8-byte Folded Reload
	v_fma_f64 v[96:97], v[148:149], s[6:7], v[96:97]
	v_fma_f64 v[98:99], v[146:147], s[14:15], v[98:99]
	s_delay_alu instid0(VALU_DEP_1) | instskip(NEXT) | instid1(VALU_DEP_1)
	v_fma_f64 v[124:125], v[30:31], s[10:11], v[98:99]
	v_add_f64_e32 v[98:99], v[124:125], v[112:113]
	v_add_f64_e64 v[124:125], v[124:125], -v[112:113]
	s_wait_loadcnt 0x0
	v_add_f64_e32 v[28:29], v[28:29], v[138:139]
	s_delay_alu instid0(VALU_DEP_1) | instskip(NEXT) | instid1(VALU_DEP_1)
	v_fma_f64 v[122:123], v[28:29], s[10:11], v[96:97]
	v_add_f64_e32 v[96:97], v[122:123], v[110:111]
	v_add_f64_e64 v[122:123], v[122:123], -v[110:111]
	s_clause 0x1
	scratch_load_b64 v[110:111], off, off offset:64 th:TH_LOAD_LU
	scratch_load_b64 v[112:113], off, off offset:96 th:TH_LOAD_LU
	s_wait_loadcnt 0x0
	v_add_f64_e32 v[138:139], v[110:111], v[112:113]
	s_clause 0x1
	scratch_load_b64 v[110:111], off, off offset:88 th:TH_LOAD_LU
	scratch_load_b64 v[112:113], off, off offset:104 th:TH_LOAD_LU
	s_wait_loadcnt 0x0
	v_add_f64_e32 v[142:143], v[110:111], v[112:113]
	scratch_load_b64 v[110:111], off, off offset:112 th:TH_LOAD_LU ; 8-byte Folded Reload
	v_fma_f64 v[112:113], v[78:79], s[12:13], v[198:199]
	s_delay_alu instid0(VALU_DEP_1)
	v_fma_f64 v[112:113], v[72:73], s[6:7], v[112:113]
	s_wait_loadcnt 0x0
	v_add_f64_e32 v[136:137], v[110:111], v[136:137]
	scratch_load_b64 v[110:111], off, off offset:128 th:TH_LOAD_LU ; 8-byte Folded Reload
	global_wb scope:SCOPE_SE
	s_wait_storecnt 0x0
	s_wait_loadcnt_dscnt 0x0
	s_barrier_signal -1
	s_barrier_wait -1
	global_inv scope:SCOPE_SE
	v_fma_f64 v[112:113], v[136:137], s[10:11], v[112:113]
	v_add_f64_e32 v[140:141], v[110:111], v[140:141]
	v_fma_f64 v[110:111], v[76:77], s[2:3], v[183:184]
	s_delay_alu instid0(VALU_DEP_1) | instskip(NEXT) | instid1(VALU_DEP_1)
	v_fma_f64 v[110:111], v[74:75], s[14:15], v[110:111]
	v_fma_f64 v[110:111], v[140:141], s[10:11], v[110:111]
	s_delay_alu instid0(VALU_DEP_1) | instskip(NEXT) | instid1(VALU_DEP_1)
	v_mul_f64_e32 v[126:127], s[2:3], v[110:111]
	v_fma_f64 v[126:127], v[112:113], s[10:11], v[126:127]
	v_mul_f64_e32 v[112:113], s[12:13], v[112:113]
	s_delay_alu instid0(VALU_DEP_1) | instskip(SKIP_4) | instid1(VALU_DEP_4)
	v_fma_f64 v[128:129], v[110:111], s[10:11], v[112:113]
	v_fma_f64 v[110:111], v[148:149], s[12:13], v[106:107]
	;; [unrolled: 1-line block ×6, first 2 shown]
	s_delay_alu instid0(VALU_DEP_4) | instskip(NEXT) | instid1(VALU_DEP_4)
	v_fma_f64 v[106:107], v[144:145], s[14:15], v[106:107]
	v_fma_f64 v[112:113], v[130:131], s[14:15], v[112:113]
	s_delay_alu instid0(VALU_DEP_4)
	v_fma_f64 v[5:6], v[130:131], s[6:7], v[5:6]
	v_fma_f64 v[130:131], v[204:205], s[2:3], v[42:43]
	;; [unrolled: 1-line block ×10, first 2 shown]
	v_add_f64_e32 v[110:111], v[154:155], v[126:127]
	v_add_f64_e64 v[126:127], v[154:155], -v[126:127]
	v_fma_f64 v[138:139], v[72:73], s[14:15], v[138:139]
	v_add_f64_e32 v[112:113], v[160:161], v[128:129]
	v_add_f64_e64 v[128:129], v[160:161], -v[128:129]
	v_fma_f64 v[130:131], v[104:105], s[10:11], v[130:131]
	v_fma_f64 v[42:43], v[104:105], s[10:11], v[42:43]
	;; [unrolled: 1-line block ×4, first 2 shown]
	s_delay_alu instid0(VALU_DEP_1) | instskip(SKIP_1) | instid1(VALU_DEP_2)
	v_fma_f64 v[138:139], v[74:75], s[6:7], v[138:139]
	v_fma_f64 v[74:75], v[74:75], s[2:3], v[194:195]
	;; [unrolled: 1-line block ×3, first 2 shown]
	v_mul_f64_e32 v[140:141], s[10:11], v[136:137]
	s_delay_alu instid0(VALU_DEP_3) | instskip(NEXT) | instid1(VALU_DEP_2)
	v_fma_f64 v[74:75], v[76:77], s[6:7], v[74:75]
	v_fma_f64 v[140:141], v[138:139], s[2:3], -v[140:141]
	v_mul_f64_e32 v[138:139], s[10:11], v[138:139]
	s_delay_alu instid0(VALU_DEP_1) | instskip(NEXT) | instid1(VALU_DEP_3)
	v_fma_f64 v[142:143], v[136:137], s[12:13], -v[138:139]
	v_add_f64_e32 v[136:137], v[106:107], v[140:141]
	v_add_f64_e64 v[140:141], v[106:107], -v[140:141]
	s_delay_alu instid0(VALU_DEP_3)
	v_add_f64_e32 v[138:139], v[5:6], v[142:143]
	v_add_f64_e64 v[142:143], v[5:6], -v[142:143]
	v_fma_f64 v[5:6], v[72:73], s[12:13], v[108:109]
	v_fma_f64 v[72:73], v[144:145], s[12:13], v[102:103]
	v_fma_f64 v[144:145], v[192:193], s[12:13], v[181:182]
	v_add_f64_e32 v[108:109], v[174:175], v[216:217]
	s_delay_alu instid0(VALU_DEP_4) | instskip(NEXT) | instid1(VALU_DEP_4)
	v_fma_f64 v[5:6], v[78:79], s[14:15], v[5:6]
	v_fma_f64 v[72:73], v[148:149], s[14:15], v[72:73]
	;; [unrolled: 1-line block ×3, first 2 shown]
	v_add_f64_e32 v[100:101], v[92:93], v[88:89]
	v_fma_f64 v[88:89], v[172:173], s[2:3], v[189:190]
	v_fma_f64 v[144:145], v[172:173], s[6:7], v[144:145]
	v_mul_f64_e32 v[146:147], s[2:3], v[130:131]
	v_fma_f64 v[5:6], v[152:153], s[10:11], v[5:6]
	v_fma_f64 v[28:29], v[28:29], s[10:11], v[72:73]
	;; [unrolled: 1-line block ×6, first 2 shown]
	v_mul_f64_e32 v[74:75], s[16:17], v[5:6]
	s_delay_alu instid0(VALU_DEP_2) | instskip(SKIP_2) | instid1(VALU_DEP_4)
	v_fma_f64 v[148:149], v[144:145], s[10:11], v[146:147]
	v_mul_f64_e32 v[144:145], s[12:13], v[144:145]
	v_fma_f64 v[146:147], v[235:236], s[2:3], v[247:248]
	v_fma_f64 v[76:77], v[72:73], s[6:7], -v[74:75]
	v_mul_f64_e32 v[72:73], s[16:17], v[72:73]
	s_delay_alu instid0(VALU_DEP_4) | instskip(SKIP_2) | instid1(VALU_DEP_4)
	v_fma_f64 v[130:131], v[130:131], s[10:11], v[144:145]
	v_fma_f64 v[144:145], v[227:228], s[12:13], v[243:244]
	;; [unrolled: 1-line block ×3, first 2 shown]
	v_fma_f64 v[5:6], v[5:6], s[14:15], -v[72:73]
	v_add_f64_e32 v[72:73], v[28:29], v[76:77]
	v_add_f64_e64 v[76:77], v[28:29], -v[76:77]
	v_add_f64_e32 v[28:29], v[237:238], v[253:254]
	v_fma_f64 v[144:145], v[241:242], s[6:7], v[144:145]
	v_add_f64_e32 v[74:75], v[30:31], v[5:6]
	v_add_f64_e64 v[78:79], v[30:31], -v[5:6]
	v_add_f64_e32 v[30:31], v[94:95], v[90:91]
	v_fma_f64 v[90:91], v[208:209], s[12:13], v[40:41]
	v_add_f64_e32 v[5:6], v[185:186], v[249:250]
	v_fma_f64 v[40:41], v[208:209], s[2:3], v[40:41]
	s_delay_alu instid0(VALU_DEP_4) | instskip(NEXT) | instid1(VALU_DEP_4)
	v_fma_f64 v[88:89], v[30:31], s[10:11], v[88:89]
	v_fma_f64 v[90:91], v[204:205], s[14:15], v[90:91]
	s_delay_alu instid0(VALU_DEP_3) | instskip(NEXT) | instid1(VALU_DEP_3)
	v_fma_f64 v[40:41], v[204:205], s[6:7], v[40:41]
	v_mul_f64_e32 v[92:93], s[16:17], v[88:89]
	s_delay_alu instid0(VALU_DEP_3) | instskip(SKIP_1) | instid1(VALU_DEP_4)
	v_fma_f64 v[90:91], v[100:101], s[10:11], v[90:91]
	v_mul_f64_e32 v[88:89], s[14:15], v[88:89]
	v_fma_f64 v[40:41], v[100:101], s[10:11], v[40:41]
	s_delay_alu instid0(VALU_DEP_3) | instskip(NEXT) | instid1(VALU_DEP_3)
	v_fma_f64 v[92:93], v[90:91], s[6:7], v[92:93]
	v_fma_f64 v[94:95], v[90:91], s[16:17], v[88:89]
	;; [unrolled: 1-line block ×4, first 2 shown]
	s_delay_alu instid0(VALU_DEP_2) | instskip(NEXT) | instid1(VALU_DEP_2)
	v_fma_f64 v[88:89], v[227:228], s[6:7], v[88:89]
	v_fma_f64 v[90:91], v[235:236], s[14:15], v[90:91]
	s_delay_alu instid0(VALU_DEP_2) | instskip(NEXT) | instid1(VALU_DEP_2)
	v_fma_f64 v[102:103], v[5:6], s[10:11], v[88:89]
	v_fma_f64 v[106:107], v[28:29], s[10:11], v[90:91]
	s_delay_alu instid0(VALU_DEP_2) | instskip(NEXT) | instid1(VALU_DEP_2)
	v_add_f64_e32 v[88:89], v[102:103], v[92:93]
	v_add_f64_e32 v[90:91], v[106:107], v[94:95]
	v_add_f64_e64 v[92:93], v[102:103], -v[92:93]
	v_add_f64_e64 v[94:95], v[106:107], -v[94:95]
	v_add_f64_e32 v[102:103], v[206:207], v[251:252]
	v_add_f64_e32 v[106:107], v[239:240], v[177:178]
	s_delay_alu instid0(VALU_DEP_2) | instskip(NEXT) | instid1(VALU_DEP_2)
	v_fma_f64 v[150:151], v[102:103], s[10:11], v[144:145]
	v_fma_f64 v[152:153], v[106:107], s[10:11], v[146:147]
	s_delay_alu instid0(VALU_DEP_2) | instskip(NEXT) | instid1(VALU_DEP_2)
	v_add_f64_e32 v[144:145], v[150:151], v[148:149]
	v_add_f64_e32 v[146:147], v[152:153], v[130:131]
	v_add_f64_e64 v[148:149], v[150:151], -v[148:149]
	v_add_f64_e64 v[150:151], v[152:153], -v[130:131]
	v_fma_f64 v[130:131], v[227:228], s[2:3], v[243:244]
	s_delay_alu instid0(VALU_DEP_1) | instskip(NEXT) | instid1(VALU_DEP_1)
	v_fma_f64 v[130:131], v[241:242], s[14:15], v[130:131]
	v_fma_f64 v[102:103], v[102:103], s[10:11], v[130:131]
	v_fma_f64 v[130:131], v[235:236], s[12:13], v[247:248]
	s_delay_alu instid0(VALU_DEP_1) | instskip(NEXT) | instid1(VALU_DEP_1)
	v_fma_f64 v[130:131], v[245:246], s[6:7], v[130:131]
	v_fma_f64 v[106:107], v[106:107], s[10:11], v[130:131]
	;; [unrolled: 4-line block ×3, first 2 shown]
	s_delay_alu instid0(VALU_DEP_1) | instskip(NEXT) | instid1(VALU_DEP_1)
	v_mul_f64_e32 v[104:105], s[10:11], v[108:109]
	v_fma_f64 v[104:105], v[42:43], s[2:3], -v[104:105]
	v_mul_f64_e32 v[42:43], s[10:11], v[42:43]
	s_delay_alu instid0(VALU_DEP_2) | instskip(NEXT) | instid1(VALU_DEP_2)
	v_add_f64_e32 v[152:153], v[102:103], v[104:105]
	v_fma_f64 v[42:43], v[108:109], s[12:13], -v[42:43]
	v_add_f64_e64 v[160:161], v[102:103], -v[104:105]
	v_fma_f64 v[102:103], v[241:242], s[12:13], v[220:221]
	v_fma_f64 v[104:105], v[245:246], s[2:3], v[233:234]
	s_delay_alu instid0(VALU_DEP_4) | instskip(SKIP_4) | instid1(VALU_DEP_3)
	v_add_f64_e32 v[154:155], v[106:107], v[42:43]
	v_add_f64_e64 v[162:163], v[106:107], -v[42:43]
	v_fma_f64 v[42:43], v[172:173], s[12:13], v[189:190]
	v_fma_f64 v[102:103], v[227:228], s[14:15], v[102:103]
	;; [unrolled: 1-line block ×4, first 2 shown]
	s_delay_alu instid0(VALU_DEP_3) | instskip(NEXT) | instid1(VALU_DEP_3)
	v_fma_f64 v[5:6], v[5:6], s[10:11], v[102:103]
	v_fma_f64 v[28:29], v[28:29], s[10:11], v[104:105]
	s_delay_alu instid0(VALU_DEP_3) | instskip(NEXT) | instid1(VALU_DEP_1)
	v_fma_f64 v[30:31], v[30:31], s[10:11], v[42:43]
	v_mul_f64_e32 v[42:43], s[16:17], v[30:31]
	s_delay_alu instid0(VALU_DEP_1) | instskip(SKIP_1) | instid1(VALU_DEP_2)
	v_fma_f64 v[42:43], v[40:41], s[6:7], -v[42:43]
	v_mul_f64_e32 v[40:41], s[16:17], v[40:41]
	v_add_f64_e32 v[164:165], v[5:6], v[42:43]
	s_delay_alu instid0(VALU_DEP_2) | instskip(SKIP_1) | instid1(VALU_DEP_2)
	v_fma_f64 v[30:31], v[30:31], s[14:15], -v[40:41]
	v_add_f64_e64 v[168:169], v[5:6], -v[42:43]
	v_add_f64_e32 v[166:167], v[28:29], v[30:31]
	v_add_f64_e64 v[170:171], v[28:29], -v[30:31]
	ds_store_b128 v0, v[1:4]
	ds_store_b128 v0, v[80:83] offset:16
	ds_store_b128 v0, v[68:71] offset:32
	;; [unrolled: 1-line block ×29, first 2 shown]
	v_cmpx_gt_u32_e32 36, v176
	s_cbranch_execz .LBB0_19
; %bb.18:
	v_add_f64_e32 v[1:2], v[46:47], v[34:35]
	v_add_f64_e32 v[3:4], v[54:55], v[26:27]
	;; [unrolled: 1-line block ×4, first 2 shown]
	v_add_f64_e64 v[30:31], v[46:47], -v[34:35]
	v_add_f64_e64 v[36:37], v[44:45], -v[32:33]
	;; [unrolled: 1-line block ×4, first 2 shown]
	v_add_f64_e32 v[42:43], v[18:19], v[14:15]
	v_add_f64_e64 v[56:57], v[54:55], -v[46:47]
	v_add_f64_e64 v[58:59], v[26:27], -v[34:35]
	v_add_f64_e32 v[60:61], v[22:23], v[10:11]
	v_add_f64_e64 v[62:63], v[44:45], -v[52:53]
	v_add_f64_e64 v[64:65], v[32:33], -v[24:25]
	;; [unrolled: 1-line block ×4, first 2 shown]
	v_add_f64_e32 v[70:71], v[16:17], v[12:13]
	v_add_f64_e32 v[72:73], v[20:21], v[8:9]
	v_add_f64_e64 v[80:81], v[52:53], -v[44:45]
	v_add_f64_e64 v[82:83], v[24:25], -v[32:33]
	v_add_f64_e32 v[90:91], v[231:232], v[22:23]
	v_add_f64_e32 v[94:95], v[229:230], v[20:21]
	v_add_f64_e64 v[86:87], v[16:17], -v[12:13]
	v_add_f64_e64 v[88:89], v[20:21], -v[8:9]
	;; [unrolled: 1-line block ×3, first 2 shown]
	v_add_nc_u32_e32 v0, 0x2580, v0
	v_fma_f64 v[1:2], v[1:2], -0.5, v[50:51]
	v_fma_f64 v[3:4], v[3:4], -0.5, v[50:51]
	;; [unrolled: 1-line block ×4, first 2 shown]
	v_add_f64_e32 v[50:51], v[50:51], v[54:55]
	v_add_f64_e32 v[48:49], v[48:49], v[52:53]
	v_add_f64_e64 v[54:55], v[22:23], -v[10:11]
	v_fma_f64 v[42:43], v[42:43], -0.5, v[231:232]
	v_add_f64_e32 v[52:53], v[56:57], v[58:59]
	v_fma_f64 v[56:57], v[60:61], -0.5, v[231:232]
	v_add_f64_e32 v[58:59], v[62:63], v[64:65]
	v_add_f64_e32 v[60:61], v[66:67], v[68:69]
	v_fma_f64 v[62:63], v[70:71], -0.5, v[229:230]
	v_fma_f64 v[64:65], v[72:73], -0.5, v[229:230]
	v_add_f64_e32 v[72:73], v[80:81], v[82:83]
	v_add_f64_e64 v[80:81], v[12:13], -v[8:9]
	v_fma_f64 v[74:75], v[38:39], s[2:3], v[1:2]
	v_fma_f64 v[76:77], v[36:37], s[12:13], v[3:4]
	;; [unrolled: 1-line block ×8, first 2 shown]
	v_add_f64_e32 v[46:47], v[50:51], v[46:47]
	v_add_f64_e32 v[44:45], v[48:49], v[44:45]
	v_fma_f64 v[48:49], v[88:89], s[2:3], v[42:43]
	v_fma_f64 v[50:51], v[86:87], s[12:13], v[56:57]
	;; [unrolled: 1-line block ×13, first 2 shown]
	v_add_f64_e64 v[30:31], v[22:23], -v[18:19]
	v_add_f64_e64 v[22:23], v[18:19], -v[22:23]
	;; [unrolled: 1-line block ×4, first 2 shown]
	v_add_f64_e32 v[18:19], v[90:91], v[18:19]
	v_add_f64_e32 v[16:17], v[94:95], v[16:17]
	v_add_f64_e64 v[38:39], v[10:11], -v[14:15]
	v_add_f64_e64 v[40:41], v[14:15], -v[10:11]
	;; [unrolled: 1-line block ×3, first 2 shown]
	v_fma_f64 v[1:2], v[36:37], s[14:15], v[1:2]
	v_fma_f64 v[84:85], v[92:93], s[2:3], v[64:65]
	;; [unrolled: 1-line block ×12, first 2 shown]
	v_add_f64_e32 v[20:21], v[20:21], v[80:81]
	v_add_f64_e32 v[14:15], v[18:19], v[14:15]
	;; [unrolled: 1-line block ×8, first 2 shown]
	v_fma_f64 v[32:33], v[86:87], s[6:7], v[48:49]
	v_fma_f64 v[34:35], v[88:89], s[6:7], v[50:51]
	;; [unrolled: 1-line block ×7, first 2 shown]
	v_mul_f64_e32 v[48:49], s[16:17], v[66:67]
	v_mul_f64_e32 v[50:51], s[10:11], v[68:69]
	;; [unrolled: 1-line block ×8, first 2 shown]
	v_add_f64_e32 v[10:11], v[14:15], v[10:11]
	v_add_f64_e32 v[14:15], v[18:19], v[26:27]
	;; [unrolled: 1-line block ×4, first 2 shown]
	v_fma_f64 v[24:25], v[30:31], s[10:11], v[32:33]
	v_fma_f64 v[26:27], v[22:23], s[10:11], v[34:35]
	;; [unrolled: 1-line block ×7, first 2 shown]
	v_fma_f64 v[22:23], v[28:29], s[14:15], -v[48:49]
	v_fma_f64 v[28:29], v[5:6], s[12:13], -v[50:51]
	v_fma_f64 v[30:31], v[3:4], s[10:11], v[56:57]
	v_fma_f64 v[48:49], v[38:39], s[10:11], v[58:59]
	;; [unrolled: 1-line block ×5, first 2 shown]
	v_fma_f64 v[54:55], v[68:69], s[2:3], -v[62:63]
	v_fma_f64 v[56:57], v[66:67], s[6:7], -v[64:65]
	v_add_f64_e32 v[7:8], v[10:11], v[14:15]
	v_add_f64_e64 v[3:4], v[10:11], -v[14:15]
	v_add_f64_e32 v[5:6], v[12:13], v[16:17]
	v_add_f64_e64 v[1:2], v[12:13], -v[16:17]
	v_add_f64_e64 v[11:12], v[24:25], -v[22:23]
	v_add_f64_e64 v[15:16], v[26:27], -v[28:29]
	v_add_f64_e64 v[19:20], v[32:33], -v[30:31]
	v_add_f64_e32 v[31:32], v[32:33], v[30:31]
	v_add_f64_e32 v[35:36], v[40:41], v[38:39]
	;; [unrolled: 1-line block ×8, first 2 shown]
	v_add_f64_e64 v[39:40], v[40:41], -v[38:39]
	v_add_f64_e64 v[37:38], v[48:49], -v[50:51]
	;; [unrolled: 1-line block ×5, first 2 shown]
	ds_store_b128 v0, v[5:8] offset:19200
	ds_store_b128 v0, v[33:36] offset:19216
	;; [unrolled: 1-line block ×10, first 2 shown]
.LBB0_19:
	s_or_b32 exec_lo, exec_lo, s1
	v_and_b32_e32 v0, 0xff, v176
	v_add_nc_u32_e32 v1, 60, v176
	v_add_nc_u16 v225, v176, 0x78
	global_wb scope:SCOPE_SE
	s_wait_dscnt 0x0
	s_barrier_signal -1
	v_mul_lo_u16 v0, 0xcd, v0
	s_barrier_wait -1
	global_inv scope:SCOPE_SE
	v_add_nc_u16 v227, v176, 0xb4
	v_add_nc_u32_e32 v226, 0xf0, v176
	v_lshrrev_b16 v214, 11, v0
	v_add_nc_u32_e32 v177, 0x12c, v176
	s_mov_b32 s2, 0xe8584caa
	s_mov_b32 s3, 0x3febb67a
	;; [unrolled: 1-line block ×3, first 2 shown]
	v_mul_lo_u16 v0, v214, 10
	v_and_b32_e32 v230, 0xffff, v177
	s_wait_alu 0xfffe
	s_mov_b32 s0, s2
	v_mov_b32_e32 v2, v1
	v_sub_nc_u16 v0, v176, v0
	s_delay_alu instid0(VALU_DEP_1) | instskip(SKIP_1) | instid1(VALU_DEP_2)
	v_and_b32_e32 v233, 0xff, v0
	v_and_b32_e32 v0, 0xff, v1
	v_mul_u32_u24_e32 v1, 5, v233
	s_delay_alu instid0(VALU_DEP_2) | instskip(NEXT) | instid1(VALU_DEP_2)
	v_mul_lo_u16 v0, 0xcd, v0
	v_lshlrev_b32_e32 v1, 4, v1
	s_delay_alu instid0(VALU_DEP_2)
	v_lshrrev_b16 v236, 11, v0
	s_clause 0x1
	global_load_b128 v[28:31], v1, s[4:5]
	global_load_b128 v[32:35], v1, s[4:5] offset:16
	v_mul_lo_u16 v0, v236, 10
	s_clause 0x2
	global_load_b128 v[72:75], v1, s[4:5] offset:32
	global_load_b128 v[76:79], v1, s[4:5] offset:48
	;; [unrolled: 1-line block ×3, first 2 shown]
	v_sub_nc_u16 v0, v2, v0
	v_and_b32_e32 v2, 0xff, v225
	s_delay_alu instid0(VALU_DEP_2) | instskip(NEXT) | instid1(VALU_DEP_2)
	v_and_b32_e32 v234, 0xff, v0
	v_mul_lo_u16 v0, 0xcd, v2
	s_delay_alu instid0(VALU_DEP_2) | instskip(NEXT) | instid1(VALU_DEP_2)
	v_mul_u32_u24_e32 v2, 5, v234
	v_lshrrev_b16 v237, 11, v0
	s_delay_alu instid0(VALU_DEP_2) | instskip(NEXT) | instid1(VALU_DEP_2)
	v_lshlrev_b32_e32 v0, 4, v2
	v_mul_lo_u16 v1, v237, 10
	v_and_b32_e32 v2, 0xffff, v226
	s_clause 0x1
	global_load_b128 v[84:87], v0, s[4:5]
	global_load_b128 v[88:91], v0, s[4:5] offset:16
	v_sub_nc_u16 v1, v225, v1
	s_clause 0x1
	global_load_b128 v[92:95], v0, s[4:5] offset:32
	global_load_b128 v[194:197], v0, s[4:5] offset:48
	v_and_b32_e32 v235, 0xff, v1
	s_delay_alu instid0(VALU_DEP_1) | instskip(NEXT) | instid1(VALU_DEP_1)
	v_mul_u32_u24_e32 v1, 5, v235
	v_lshlrev_b32_e32 v1, 4, v1
	s_clause 0x1
	global_load_b128 v[112:115], v0, s[4:5] offset:64
	global_load_b128 v[116:119], v1, s[4:5]
	v_and_b32_e32 v0, 0xff, v227
	s_clause 0x3
	global_load_b128 v[108:111], v1, s[4:5] offset:16
	global_load_b128 v[96:99], v1, s[4:5] offset:32
	;; [unrolled: 1-line block ×4, first 2 shown]
	v_mul_lo_u16 v0, 0xcd, v0
	s_delay_alu instid0(VALU_DEP_1) | instskip(NEXT) | instid1(VALU_DEP_1)
	v_lshrrev_b16 v238, 11, v0
	v_mul_lo_u16 v0, v238, 10
	s_delay_alu instid0(VALU_DEP_1) | instskip(NEXT) | instid1(VALU_DEP_1)
	v_sub_nc_u16 v0, v227, v0
	v_and_b32_e32 v239, 0xff, v0
	v_mul_u32_u24_e32 v0, 0xcccd, v2
	s_delay_alu instid0(VALU_DEP_2) | instskip(NEXT) | instid1(VALU_DEP_2)
	v_mul_u32_u24_e32 v2, 5, v239
	v_lshrrev_b32_e32 v240, 19, v0
	s_delay_alu instid0(VALU_DEP_2)
	v_lshlrev_b32_e32 v0, 4, v2
	v_mul_u32_u24_e32 v2, 0xcccd, v230
	s_clause 0x4
	global_load_b128 v[132:135], v0, s[4:5]
	global_load_b128 v[128:131], v0, s[4:5] offset:16
	global_load_b128 v[124:127], v0, s[4:5] offset:32
	;; [unrolled: 1-line block ×4, first 2 shown]
	v_mul_lo_u16 v1, v240, 10
	v_lshrrev_b32_e32 v231, 19, v2
	s_delay_alu instid0(VALU_DEP_2) | instskip(NEXT) | instid1(VALU_DEP_1)
	v_sub_nc_u16 v1, v226, v1
	v_and_b32_e32 v241, 0xffff, v1
	s_delay_alu instid0(VALU_DEP_3) | instskip(NEXT) | instid1(VALU_DEP_2)
	v_mul_lo_u16 v1, v231, 10
	v_mul_u32_u24_e32 v2, 5, v241
	s_delay_alu instid0(VALU_DEP_2) | instskip(NEXT) | instid1(VALU_DEP_2)
	v_sub_nc_u16 v1, v177, v1
	v_lshlrev_b32_e32 v2, 4, v2
	s_delay_alu instid0(VALU_DEP_2)
	v_and_b32_e32 v232, 0xffff, v1
	s_clause 0x1
	global_load_b128 v[24:27], v2, s[4:5]
	global_load_b128 v[16:19], v2, s[4:5] offset:16
	v_mul_u32_u24_e32 v0, 5, v232
	s_clause 0x1
	global_load_b128 v[12:15], v2, s[4:5] offset:32
	global_load_b128 v[4:7], v2, s[4:5] offset:48
	v_lshlrev_b32_e32 v0, 4, v0
	s_clause 0x5
	global_load_b128 v[8:11], v2, s[4:5] offset:64
	global_load_b128 v[48:51], v0, s[4:5]
	global_load_b128 v[44:47], v0, s[4:5] offset:16
	global_load_b128 v[40:43], v0, s[4:5] offset:32
	;; [unrolled: 1-line block ×4, first 2 shown]
	ds_load_b128 v[140:143], v222 offset:5760
	ds_load_b128 v[144:147], v222 offset:11520
	;; [unrolled: 1-line block ×19, first 2 shown]
	s_wait_loadcnt_dscnt 0x1d12
	v_mul_f64_e32 v[178:179], v[142:143], v[30:31]
	v_mul_f64_e32 v[30:31], v[140:141], v[30:31]
	s_wait_loadcnt_dscnt 0x1c11
	v_mul_f64_e32 v[184:185], v[146:147], v[34:35]
	v_mul_f64_e32 v[34:35], v[144:145], v[34:35]
	s_wait_loadcnt_dscnt 0x1a0f
	v_mul_f64_e32 v[188:189], v[154:155], v[78:79]
	s_wait_loadcnt_dscnt 0x190d
	v_mul_f64_e32 v[215:216], v[158:159], v[82:83]
	v_mul_f64_e32 v[186:187], v[150:151], v[74:75]
	;; [unrolled: 1-line block ×5, first 2 shown]
	s_wait_loadcnt_dscnt 0x180c
	v_mul_f64_e32 v[250:251], v[208:209], v[86:87]
	v_mul_f64_e32 v[86:87], v[206:207], v[86:87]
	s_wait_loadcnt_dscnt 0x170a
	v_mul_f64_e32 v[252:253], v[212:213], v[90:91]
	v_mul_f64_e32 v[90:91], v[210:211], v[90:91]
	;; [unrolled: 3-line block ×3, first 2 shown]
	v_fma_f64 v[223:224], v[140:141], v[28:29], -v[178:179]
	s_wait_loadcnt_dscnt 0x1506
	v_mul_f64_e32 v[178:179], v[248:249], v[196:197]
	v_mul_f64_e32 v[196:197], v[246:247], v[196:197]
	v_fma_f64 v[228:229], v[142:143], v[28:29], v[30:31]
	v_fma_f64 v[192:193], v[152:153], v[76:77], -v[188:189]
	v_fma_f64 v[188:189], v[156:157], v[80:81], -v[215:216]
	ds_load_b128 v[140:143], v222 offset:30720
	v_fma_f64 v[198:199], v[144:145], v[32:33], -v[184:185]
	v_fma_f64 v[202:203], v[146:147], v[32:33], v[34:35]
	s_wait_loadcnt_dscnt 0x1405
	v_mul_f64_e32 v[180:181], v[174:175], v[114:115]
	s_wait_loadcnt_dscnt 0x1304
	v_mul_f64_e32 v[182:183], v[170:171], v[118:119]
	v_mul_f64_e32 v[118:119], v[168:169], v[118:119]
	s_wait_loadcnt_dscnt 0x1203
	v_mul_f64_e32 v[218:219], v[166:167], v[110:111]
	;; [unrolled: 3-line block ×3, first 2 shown]
	v_mul_f64_e32 v[98:99], v[160:161], v[98:99]
	v_fma_f64 v[200:201], v[148:149], v[72:73], -v[186:187]
	v_fma_f64 v[204:205], v[150:151], v[72:73], v[74:75]
	ds_load_b128 v[32:35], v222 offset:960
	ds_load_b128 v[28:31], v222 offset:1920
	v_fma_f64 v[186:187], v[158:159], v[80:81], v[82:83]
	ds_load_b128 v[156:159], v222 offset:8640
	ds_load_b128 v[72:75], v222 offset:9600
	v_mul_f64_e32 v[114:115], v[172:173], v[114:115]
	v_fma_f64 v[190:191], v[154:155], v[76:77], v[78:79]
	ds_load_b128 v[148:151], v222 offset:14400
	ds_load_b128 v[76:79], v222 offset:15360
	;; [unrolled: 1-line block ×4, first 2 shown]
	v_fma_f64 v[184:185], v[206:207], v[84:85], -v[250:251]
	v_fma_f64 v[250:251], v[208:209], v[84:85], v[86:87]
	v_fma_f64 v[208:209], v[210:211], v[88:89], -v[252:253]
	v_fma_f64 v[212:213], v[212:213], v[88:89], v[90:91]
	;; [unrolled: 2-line block ×3, first 2 shown]
	ds_load_b128 v[144:147], v222 offset:25920
	ds_load_b128 v[84:87], v222 offset:26880
	ds_load_b128 v[92:95], v222 offset:31680
	ds_load_b128 v[88:91], v222 offset:32640
	v_fma_f64 v[178:179], v[246:247], v[194:195], -v[178:179]
	v_fma_f64 v[194:195], v[248:249], v[194:195], v[196:197]
	v_and_b32_e32 v196, 0xffff, v214
	v_and_b32_e32 v197, 0xffff, v238
	s_delay_alu instid0(VALU_DEP_2)
	v_mul_u32_u24_e32 v196, 0x3c0, v196
	v_fma_f64 v[214:215], v[172:173], v[112:113], -v[180:181]
	s_wait_loadcnt_dscnt 0x100d
	v_mul_f64_e32 v[180:181], v[138:139], v[102:103]
	v_mul_f64_e32 v[102:103], v[136:137], v[102:103]
	v_fma_f64 v[172:173], v[168:169], v[116:117], -v[182:183]
	v_fma_f64 v[168:169], v[170:171], v[116:117], v[118:119]
	s_wait_loadcnt_dscnt 0xf0c
	v_mul_f64_e32 v[118:119], v[142:143], v[106:107]
	v_mul_f64_e32 v[170:171], v[140:141], v[106:107]
	v_fma_f64 v[106:107], v[164:165], v[108:109], -v[218:219]
	s_wait_loadcnt_dscnt 0xe09
	v_mul_f64_e32 v[164:165], v[158:159], v[134:135]
	v_mul_f64_e32 v[134:135], v[156:157], v[134:135]
	v_and_b32_e32 v182, 0xffff, v236
	v_and_b32_e32 v183, 0xffff, v237
	v_fma_f64 v[108:109], v[166:167], v[108:109], v[220:221]
	s_wait_loadcnt_dscnt 0xd07
	v_mul_f64_e32 v[166:167], v[150:151], v[130:131]
	v_fma_f64 v[160:161], v[160:161], v[96:97], -v[216:217]
	v_mul_u32_u24_e32 v218, 0x3c0, v182
	v_mul_u32_u24_e32 v219, 0x3c0, v183
	v_mul_f64_e32 v[182:183], v[148:149], v[130:131]
	v_fma_f64 v[162:163], v[162:163], v[96:97], v[98:99]
	s_wait_loadcnt_dscnt 0xc05
	v_mul_f64_e32 v[96:97], v[154:155], v[126:127]
	v_mul_f64_e32 v[98:99], v[152:153], v[126:127]
	v_fma_f64 v[174:175], v[174:175], v[112:113], v[114:115]
	ds_load_b128 v[110:113], v222
	ds_load_b128 v[114:117], v222 offset:33600
	v_mul_u32_u24_e32 v220, 0x3c0, v197
	v_lshlrev_b32_e32 v126, 4, v234
	v_lshlrev_b32_e32 v127, 4, v235
	;; [unrolled: 1-line block ×3, first 2 shown]
	s_wait_loadcnt_dscnt 0xb05
	v_mul_f64_e32 v[216:217], v[144:145], v[122:123]
	v_lshlrev_b32_e32 v130, 4, v233
	v_add3_u32 v131, 0, v218, v126
	v_add3_u32 v127, 0, v219, v127
	;; [unrolled: 1-line block ×3, first 2 shown]
	s_wait_loadcnt_dscnt 0xa03
	v_mul_f64_e32 v[218:219], v[94:95], v[22:23]
	v_mul_f64_e32 v[220:221], v[92:93], v[22:23]
	v_add3_u32 v130, 0, v196, v130
	v_mul_f64_e32 v[196:197], v[146:147], v[122:123]
	s_wait_loadcnt 0x8
	v_mul_f64_e32 v[233:234], v[76:77], v[18:19]
	v_mul_u32_u24_e32 v236, 0x3c0, v240
	v_lshlrev_b32_e32 v235, 4, v241
	v_fma_f64 v[122:123], v[136:137], v[100:101], -v[180:181]
	v_fma_f64 v[22:23], v[138:139], v[100:101], v[102:103]
	v_mul_f64_e32 v[136:137], v[74:75], v[26:27]
	v_mul_f64_e32 v[138:139], v[72:73], v[26:27]
	;; [unrolled: 1-line block ×3, first 2 shown]
	v_fma_f64 v[26:27], v[140:141], v[104:105], -v[118:119]
	v_fma_f64 v[18:19], v[142:143], v[104:105], v[170:171]
	s_wait_loadcnt 0x7
	v_mul_f64_e32 v[104:105], v[82:83], v[14:15]
	v_mul_f64_e32 v[118:119], v[80:81], v[14:15]
	s_wait_loadcnt 0x6
	v_mul_f64_e32 v[140:141], v[86:87], v[6:7]
	v_mul_f64_e32 v[142:143], v[84:85], v[6:7]
	v_fma_f64 v[14:15], v[156:157], v[132:133], -v[164:165]
	v_fma_f64 v[6:7], v[158:159], v[132:133], v[134:135]
	s_wait_loadcnt_dscnt 0x502
	v_mul_f64_e32 v[132:133], v[90:91], v[10:11]
	v_mul_f64_e32 v[134:135], v[88:89], v[10:11]
	s_wait_loadcnt 0x4
	v_mul_f64_e32 v[156:157], v[58:59], v[50:51]
	v_mul_f64_e32 v[50:51], v[56:57], v[50:51]
	v_fma_f64 v[148:149], v[148:149], v[128:129], -v[166:167]
	v_fma_f64 v[128:129], v[150:151], v[128:129], v[182:183]
	s_wait_loadcnt 0x3
	v_mul_f64_e32 v[150:151], v[62:63], v[46:47]
	v_mul_f64_e32 v[46:47], v[60:61], v[46:47]
	s_wait_loadcnt 0x2
	v_mul_f64_e32 v[158:159], v[66:67], v[42:43]
	v_mul_f64_e32 v[164:165], v[64:65], v[42:43]
	v_fma_f64 v[152:153], v[152:153], v[124:125], -v[96:97]
	v_fma_f64 v[124:125], v[154:155], v[124:125], v[98:99]
	s_wait_loadcnt 0x1
	v_mul_f64_e32 v[154:155], v[70:71], v[38:39]
	s_wait_loadcnt_dscnt 0x0
	v_mul_f64_e32 v[170:171], v[116:117], v[54:55]
	v_mul_f64_e32 v[54:55], v[114:115], v[54:55]
	;; [unrolled: 1-line block ×3, first 2 shown]
	v_fma_f64 v[10:11], v[146:147], v[120:121], v[216:217]
	v_mul_u32_u24_e32 v43, 5, v176
	v_fma_f64 v[92:93], v[92:93], v[20:21], -v[218:219]
	v_fma_f64 v[20:21], v[94:95], v[20:21], v[220:221]
	ds_load_b128 v[100:103], v222 offset:2880
	ds_load_b128 v[96:99], v222 offset:3840
	v_fma_f64 v[38:39], v[144:145], v[120:121], -v[196:197]
	v_lshlrev_b32_e32 v216, 4, v43
	v_mul_u32_u24_e32 v120, 0x3c0, v231
	v_lshlrev_b32_e32 v121, 4, v232
	v_add_f64_e64 v[144:145], v[206:207], -v[214:215]
	v_add_f64_e32 v[146:147], v[28:29], v[106:107]
	v_fma_f64 v[72:73], v[72:73], v[24:25], -v[136:137]
	v_fma_f64 v[24:25], v[74:75], v[24:25], v[138:139]
	v_fma_f64 v[74:75], v[76:77], v[16:17], -v[180:181]
	v_fma_f64 v[16:17], v[78:79], v[16:17], v[233:234]
	v_add3_u32 v245, 0, v120, v121
	v_fma_f64 v[76:77], v[80:81], v[12:13], -v[104:105]
	v_fma_f64 v[12:13], v[82:83], v[12:13], v[118:119]
	v_fma_f64 v[78:79], v[84:85], v[4:5], -v[140:141]
	v_fma_f64 v[4:5], v[86:87], v[4:5], v[142:143]
	v_add_f64_e32 v[84:85], v[200:201], v[188:189]
	v_add_f64_e32 v[82:83], v[223:224], v[200:201]
	v_fma_f64 v[80:81], v[88:89], v[8:9], -v[132:133]
	v_fma_f64 v[8:9], v[90:91], v[8:9], v[134:135]
	v_fma_f64 v[56:57], v[56:57], v[48:49], -v[156:157]
	v_fma_f64 v[48:49], v[58:59], v[48:49], v[50:51]
	v_add_f64_e32 v[90:91], v[204:205], v[186:187]
	v_add_f64_e32 v[120:121], v[212:213], v[194:195]
	;; [unrolled: 6-line block ×3, first 2 shown]
	v_fma_f64 v[58:59], v[68:69], v[36:37], -v[154:155]
	v_fma_f64 v[60:61], v[114:115], v[52:53], -v[170:171]
	v_fma_f64 v[52:53], v[116:117], v[52:53], v[54:55]
	v_add_f64_e32 v[54:55], v[110:111], v[198:199]
	v_add_f64_e32 v[68:69], v[202:203], v[190:191]
	;; [unrolled: 1-line block ×4, first 2 shown]
	v_fma_f64 v[36:37], v[70:71], v[36:37], v[166:167]
	v_add_f64_e32 v[88:89], v[228:229], v[204:205]
	v_add_f64_e32 v[114:115], v[208:209], v[178:179]
	;; [unrolled: 1-line block ×5, first 2 shown]
	v_add_f64_e64 v[154:155], v[108:109], -v[22:23]
	v_add_f64_e32 v[156:157], v[30:31], v[108:109]
	v_add_f64_e32 v[108:109], v[108:109], v[22:23]
	;; [unrolled: 1-line block ×3, first 2 shown]
	v_add_f64_e64 v[166:167], v[162:163], -v[18:19]
	v_add_f64_e32 v[170:171], v[168:169], v[162:163]
	v_add_f64_e32 v[162:163], v[162:163], v[18:19]
	v_add_f64_e64 v[64:65], v[202:203], -v[190:191]
	v_add_f64_e64 v[70:71], v[198:199], -v[192:193]
	;; [unrolled: 1-line block ×3, first 2 shown]
	v_add_f64_e32 v[104:105], v[32:33], v[208:209]
	v_add_f64_e64 v[196:197], v[128:129], -v[10:11]
	s_wait_dscnt 0x1
	v_add_f64_e32 v[198:199], v[102:103], v[128:129]
	v_add_f64_e32 v[128:129], v[128:129], v[10:11]
	;; [unrolled: 1-line block ×3, first 2 shown]
	v_add_f64_e64 v[204:205], v[124:125], -v[20:21]
	v_add_f64_e32 v[206:207], v[6:7], v[124:125]
	v_add_f64_e32 v[124:125], v[124:125], v[20:21]
	v_add3_u32 v42, 0, v236, v235
	v_add_f64_e64 v[116:117], v[212:213], -v[194:195]
	v_add_f64_e32 v[150:151], v[106:107], v[122:123]
	v_add_f64_e64 v[212:213], v[16:17], -v[4:5]
	s_wait_dscnt 0x0
	v_add_f64_e32 v[217:218], v[98:99], v[16:17]
	v_add_f64_e32 v[16:17], v[16:17], v[4:5]
	;; [unrolled: 1-line block ×3, first 2 shown]
	v_add_f64_e64 v[233:234], v[12:13], -v[8:9]
	v_add_f64_e32 v[235:236], v[24:25], v[12:13]
	v_add_f64_e32 v[12:13], v[12:13], v[8:9]
	;; [unrolled: 1-line block ×3, first 2 shown]
	v_fma_f64 v[68:69], v[68:69], -0.5, v[112:113]
	v_add_f64_e32 v[112:113], v[45:46], v[60:61]
	v_add_f64_e32 v[54:55], v[54:55], v[192:193]
	v_add_f64_e64 v[192:193], v[40:41], -v[52:53]
	v_add_f64_e32 v[66:67], v[66:67], v[190:191]
	v_add_f64_e32 v[190:191], v[48:49], v[40:41]
	;; [unrolled: 1-line block ×3, first 2 shown]
	v_add_f64_e64 v[94:95], v[200:201], -v[188:189]
	v_fma_f64 v[62:63], v[62:63], -0.5, v[110:111]
	v_add_f64_e32 v[110:111], v[56:57], v[45:46]
	v_fma_f64 v[84:85], v[84:85], -0.5, v[223:224]
	v_fma_f64 v[90:91], v[90:91], -0.5, v[228:229]
	v_add_f64_e64 v[138:139], v[210:211], -v[174:175]
	v_add_f64_e32 v[158:159], v[172:173], v[160:161]
	v_add_f64_e32 v[239:240], v[50:51], v[58:59]
	;; [unrolled: 1-line block ×3, first 2 shown]
	v_fma_f64 v[34:35], v[120:121], -0.5, v[34:35]
	v_fma_f64 v[120:121], v[136:137], -0.5, v[184:185]
	;; [unrolled: 1-line block ×3, first 2 shown]
	v_add_f64_e64 v[241:242], v[43:44], -v[36:37]
	v_add_f64_e32 v[43:44], v[43:44], v[36:37]
	v_add_f64_e32 v[88:89], v[88:89], v[186:187]
	v_add_f64_e64 v[160:161], v[160:161], -v[26:27]
	v_add_f64_e32 v[182:183], v[148:149], v[38:39]
	v_fma_f64 v[32:33], v[114:115], -0.5, v[32:33]
	v_add_f64_e32 v[114:115], v[118:119], v[194:195]
	v_add_f64_e32 v[118:119], v[134:135], v[214:215]
	v_add_f64_e32 v[134:135], v[140:141], v[174:175]
	v_fma_f64 v[30:31], v[108:109], -0.5, v[30:31]
	v_fma_f64 v[108:109], v[164:165], -0.5, v[172:173]
	v_add_f64_e32 v[140:141], v[170:171], v[18:19]
	v_fma_f64 v[18:19], v[162:163], -0.5, v[168:169]
	v_add_f64_e64 v[132:133], v[208:209], -v[178:179]
	v_add_f64_e64 v[106:107], v[106:107], -v[122:123]
	v_add_f64_e32 v[180:181], v[100:101], v[148:149]
	v_add_f64_e32 v[200:201], v[14:15], v[152:153]
	v_add_f64_e64 v[152:153], v[152:153], -v[92:93]
	v_add_f64_e32 v[104:105], v[104:105], v[178:179]
	v_add_f64_e32 v[122:123], v[146:147], v[122:123]
	v_fma_f64 v[102:103], v[128:129], -0.5, v[102:103]
	v_fma_f64 v[128:129], v[202:203], -0.5, v[14:15]
	v_add_f64_e32 v[146:147], v[206:207], v[20:21]
	v_fma_f64 v[20:21], v[124:125], -0.5, v[6:7]
	v_add_f64_e32 v[210:211], v[74:75], v[78:79]
	v_add_f64_e32 v[219:220], v[72:73], v[76:77]
	v_add_f64_e64 v[76:77], v[76:77], -v[80:81]
	v_fma_f64 v[28:29], v[150:151], -0.5, v[28:29]
	v_fma_f64 v[98:99], v[16:17], -0.5, v[98:99]
	;; [unrolled: 1-line block ×4, first 2 shown]
	v_add_f64_e64 v[45:46], v[45:46], -v[60:61]
	v_add_f64_e32 v[22:23], v[156:157], v[22:23]
	v_add_f64_e32 v[156:157], v[243:244], v[36:37]
	v_fma_f64 v[36:37], v[112:113], -0.5, v[56:57]
	v_fma_f64 v[40:41], v[40:41], -0.5, v[48:49]
	v_add_f64_e32 v[60:61], v[110:111], v[60:61]
	v_fma_f64 v[110:111], v[64:65], s[2:3], v[62:63]
	s_wait_alu 0xfffe
	v_fma_f64 v[62:63], v[64:65], s[0:1], v[62:63]
	v_fma_f64 v[47:48], v[86:87], s[2:3], v[84:85]
	;; [unrolled: 1-line block ×7, first 2 shown]
	v_add_f64_e32 v[237:238], v[0:1], v[50:51]
	v_add_f64_e32 v[26:27], v[158:159], v[26:27]
	;; [unrolled: 1-line block ×3, first 2 shown]
	v_fma_f64 v[150:151], v[239:240], -0.5, v[0:1]
	v_add_f64_e32 v[0:1], v[54:55], v[82:83]
	v_add_f64_e64 v[4:5], v[54:55], -v[82:83]
	v_fma_f64 v[54:55], v[144:145], s[0:1], v[136:137]
	v_fma_f64 v[86:87], v[138:139], s[2:3], v[120:121]
	v_fma_f64 v[43:44], v[43:44], -0.5, v[2:3]
	v_add_f64_e32 v[2:3], v[66:67], v[88:89]
	v_add_f64_e64 v[6:7], v[66:67], -v[88:89]
	v_fma_f64 v[66:67], v[138:139], s[0:1], v[120:121]
	v_fma_f64 v[88:89], v[144:145], s[2:3], v[136:137]
	v_fma_f64 v[100:101], v[182:183], -0.5, v[100:101]
	v_fma_f64 v[82:83], v[116:117], s[2:3], v[32:33]
	v_fma_f64 v[84:85], v[116:117], s[0:1], v[32:33]
	;; [unrolled: 1-line block ×5, first 2 shown]
	v_add_f64_e64 v[148:149], v[148:149], -v[38:39]
	v_fma_f64 v[90:91], v[132:133], s[0:1], v[34:35]
	v_fma_f64 v[94:95], v[132:133], s[2:3], v[34:35]
	;; [unrolled: 1-line block ×3, first 2 shown]
	v_add_f64_e32 v[38:39], v[180:181], v[38:39]
	v_add_f64_e32 v[142:143], v[198:199], v[10:11]
	;; [unrolled: 1-line block ×6, first 2 shown]
	v_add_f64_e64 v[12:13], v[104:105], -v[118:119]
	v_add_f64_e64 v[14:15], v[114:115], -v[134:135]
	v_fma_f64 v[118:119], v[152:153], s[0:1], v[20:21]
	v_fma_f64 v[134:135], v[204:205], s[0:1], v[128:129]
	;; [unrolled: 1-line block ×4, first 2 shown]
	v_add_f64_e32 v[208:209], v[96:97], v[74:75]
	v_fma_f64 v[96:97], v[210:211], -0.5, v[96:97]
	v_fma_f64 v[104:105], v[154:155], s[2:3], v[28:29]
	v_fma_f64 v[114:115], v[154:155], s[0:1], v[28:29]
	v_fma_f64 v[144:145], v[76:77], s[0:1], v[24:25]
	v_fma_f64 v[154:155], v[233:234], s[2:3], v[16:17]
	v_fma_f64 v[152:153], v[233:234], s[0:1], v[16:17]
	v_fma_f64 v[76:77], v[76:77], s[2:3], v[24:25]
	v_fma_f64 v[158:159], v[45:46], s[0:1], v[40:41]
	v_fma_f64 v[162:163], v[192:193], s[2:3], v[36:37]
	v_fma_f64 v[160:161], v[192:193], s[0:1], v[36:37]
	v_fma_f64 v[40:41], v[45:46], s[2:3], v[40:41]
	v_mul_f64_e32 v[32:33], s[2:3], v[64:65]
	v_mul_f64_e32 v[36:37], s[0:1], v[47:48]
	v_mul_f64_e32 v[34:35], -0.5, v[56:57]
	v_mul_f64_e32 v[45:46], -0.5, v[70:71]
	v_add_f64_e64 v[74:75], v[74:75], -v[78:79]
	v_add_f64_e32 v[16:17], v[122:123], v[26:27]
	v_add_f64_e64 v[20:21], v[122:123], -v[26:27]
	v_mul_f64_e32 v[122:123], s[2:3], v[54:55]
	v_mul_f64_e32 v[164:165], s[0:1], v[86:87]
	v_add_f64_e32 v[18:19], v[22:23], v[140:141]
	v_add_f64_e64 v[22:23], v[22:23], -v[140:141]
	v_mul_f64_e32 v[140:141], -0.5, v[66:67]
	v_mul_f64_e32 v[166:167], -0.5, v[88:89]
	v_fma_f64 v[168:169], v[196:197], s[2:3], v[100:101]
	v_fma_f64 v[170:171], v[196:197], s[0:1], v[100:101]
	v_mul_f64_e32 v[100:101], s[2:3], v[116:117]
	v_mul_f64_e32 v[174:175], s[0:1], v[108:109]
	v_fma_f64 v[172:173], v[148:149], s[0:1], v[102:103]
	v_fma_f64 v[148:149], v[148:149], s[2:3], v[102:103]
	v_mul_f64_e32 v[102:103], -0.5, v[120:121]
	v_mul_f64_e32 v[178:179], -0.5, v[132:133]
	v_fma_f64 v[138:139], v[106:107], s[0:1], v[30:31]
	v_fma_f64 v[106:107], v[106:107], s[2:3], v[30:31]
	v_add_f64_e32 v[24:25], v[38:39], v[92:93]
	v_add_f64_e32 v[26:27], v[142:143], v[146:147]
	v_add_f64_e64 v[28:29], v[38:39], -v[92:93]
	v_add_f64_e64 v[30:31], v[142:143], -v[146:147]
	v_mul_f64_e32 v[92:93], s[2:3], v[118:119]
	v_mul_f64_e32 v[146:147], s[0:1], v[128:129]
	v_mul_f64_e32 v[142:143], -0.5, v[134:135]
	v_mul_f64_e32 v[180:181], -0.5, v[136:137]
	v_fma_f64 v[182:183], v[212:213], s[2:3], v[96:97]
	v_fma_f64 v[184:185], v[212:213], s[0:1], v[96:97]
	v_mul_f64_e32 v[96:97], s[2:3], v[144:145]
	v_mul_f64_e32 v[188:189], s[0:1], v[154:155]
	v_add_f64_e32 v[52:53], v[190:191], v[52:53]
	v_mul_f64_e32 v[186:187], -0.5, v[152:153]
	v_mul_f64_e32 v[190:191], -0.5, v[76:77]
	v_add_f64_e64 v[50:51], v[50:51], -v[58:59]
	v_mul_f64_e32 v[192:193], s[2:3], v[158:159]
	v_mul_f64_e32 v[196:197], s[0:1], v[162:163]
	v_mul_f64_e32 v[194:195], -0.5, v[160:161]
	v_mul_f64_e32 v[198:199], -0.5, v[40:41]
	v_fma_f64 v[200:201], v[47:48], 0.5, v[32:33]
	v_fma_f64 v[202:203], v[64:65], 0.5, v[36:37]
	v_add_f64_e32 v[58:59], v[237:238], v[58:59]
	v_fma_f64 v[70:71], v[70:71], s[2:3], v[34:35]
	v_fma_f64 v[204:205], v[56:57], s[0:1], v[45:46]
	v_add_f64_e32 v[78:79], v[208:209], v[78:79]
	v_fma_f64 v[206:207], v[74:75], s[0:1], v[98:99]
	v_fma_f64 v[208:209], v[74:75], s[2:3], v[98:99]
	v_fma_f64 v[86:87], v[86:87], 0.5, v[122:123]
	v_fma_f64 v[98:99], v[54:55], 0.5, v[164:165]
	v_fma_f64 v[88:89], v[88:89], s[2:3], v[140:141]
	v_fma_f64 v[122:123], v[66:67], s[0:1], v[166:167]
	v_add_f64_e32 v[80:81], v[219:220], v[80:81]
	v_fma_f64 v[100:101], v[108:109], 0.5, v[100:101]
	v_fma_f64 v[108:109], v[116:117], 0.5, v[174:175]
	v_fma_f64 v[102:103], v[132:133], s[2:3], v[102:103]
	v_fma_f64 v[116:117], v[120:121], s[0:1], v[178:179]
	v_add_f64_e32 v[34:35], v[124:125], v[72:73]
	v_add_f64_e64 v[38:39], v[124:125], -v[72:73]
	v_fma_f64 v[124:125], v[241:242], s[2:3], v[150:151]
	v_fma_f64 v[150:151], v[241:242], s[0:1], v[150:151]
	global_wb scope:SCOPE_SE
	v_fma_f64 v[120:121], v[128:129], 0.5, v[92:93]
	v_fma_f64 v[118:119], v[118:119], 0.5, v[146:147]
	v_fma_f64 v[128:129], v[136:137], s[2:3], v[142:143]
	v_fma_f64 v[132:133], v[134:135], s[0:1], v[180:181]
	s_barrier_signal -1
	s_barrier_wait -1
	v_fma_f64 v[134:135], v[154:155], 0.5, v[96:97]
	v_fma_f64 v[140:141], v[144:145], 0.5, v[188:189]
	v_add_f64_e32 v[45:46], v[156:157], v[52:53]
	v_fma_f64 v[136:137], v[76:77], s[2:3], v[186:187]
	v_fma_f64 v[142:143], v[152:153], s[0:1], v[190:191]
	;; [unrolled: 1-line block ×3, first 2 shown]
	v_fma_f64 v[152:153], v[162:163], 0.5, v[192:193]
	v_fma_f64 v[154:155], v[158:159], 0.5, v[196:197]
	v_fma_f64 v[166:167], v[50:51], s[2:3], v[43:44]
	v_add_f64_e64 v[49:50], v[156:157], -v[52:53]
	v_fma_f64 v[40:41], v[40:41], s[2:3], v[194:195]
	v_fma_f64 v[156:157], v[160:161], s[0:1], v[198:199]
	v_add_f64_e32 v[51:52], v[110:111], v[200:201]
	v_add_f64_e32 v[53:54], v[112:113], v[202:203]
	;; [unrolled: 1-line block ×3, first 2 shown]
	v_add_f64_e64 v[47:48], v[58:59], -v[60:61]
	v_add_f64_e32 v[55:56], v[62:63], v[70:71]
	v_add_f64_e32 v[57:58], v[68:69], v[204:205]
	v_add_f64_e64 v[59:60], v[110:111], -v[200:201]
	v_add_f64_e64 v[63:64], v[62:63], -v[70:71]
	;; [unrolled: 1-line block ×4, first 2 shown]
	v_add_f64_e32 v[67:68], v[82:83], v[86:87]
	v_add_f64_e32 v[69:70], v[90:91], v[98:99]
	;; [unrolled: 1-line block ×5, first 2 shown]
	v_add_f64_e64 v[36:37], v[78:79], -v[80:81]
	v_add_f64_e64 v[75:76], v[82:83], -v[86:87]
	;; [unrolled: 1-line block ×5, first 2 shown]
	v_add_f64_e32 v[83:84], v[104:105], v[100:101]
	v_add_f64_e32 v[85:86], v[138:139], v[108:109]
	v_add_f64_e32 v[87:88], v[114:115], v[102:103]
	v_add_f64_e32 v[89:90], v[106:107], v[116:117]
	v_add_f64_e64 v[91:92], v[104:105], -v[100:101]
	v_add_f64_e64 v[93:94], v[138:139], -v[108:109]
	v_add_f64_e64 v[95:96], v[114:115], -v[102:103]
	v_add_f64_e64 v[97:98], v[106:107], -v[116:117]
	v_add_f64_e32 v[99:100], v[168:169], v[120:121]
	v_add_f64_e32 v[101:102], v[172:173], v[118:119]
	v_add_f64_e32 v[103:104], v[170:171], v[128:129]
	v_add_f64_e32 v[105:106], v[148:149], v[132:133]
	v_add_f64_e64 v[107:108], v[168:169], -v[120:121]
	v_add_f64_e64 v[109:110], v[172:173], -v[118:119]
	v_add_f64_e64 v[111:112], v[170:171], -v[128:129]
	v_add_f64_e64 v[113:114], v[148:149], -v[132:133]
	;; [unrolled: 8-line block ×4, first 2 shown]
	global_inv scope:SCOPE_SE
	ds_store_b128 v130, v[0:3]
	ds_store_b128 v130, v[51:54] offset:160
	ds_store_b128 v130, v[55:58] offset:320
	ds_store_b128 v130, v[4:7] offset:480
	ds_store_b128 v130, v[59:62] offset:640
	ds_store_b128 v130, v[63:66] offset:800
	ds_store_b128 v131, v[8:11]
	ds_store_b128 v131, v[67:70] offset:160
	ds_store_b128 v131, v[71:74] offset:320
	ds_store_b128 v131, v[12:15] offset:480
	ds_store_b128 v131, v[75:78] offset:640
	ds_store_b128 v131, v[79:82] offset:800
	;; [unrolled: 6-line block ×6, first 2 shown]
	v_and_b32_e32 v0, 0xff, v225
	global_wb scope:SCOPE_SE
	s_wait_dscnt 0x0
	s_barrier_signal -1
	s_barrier_wait -1
	global_inv scope:SCOPE_SE
	v_mul_lo_u16 v0, 0x89, v0
	s_clause 0x1
	global_load_b128 v[104:107], v216, s[4:5] offset:832
	global_load_b128 v[108:111], v216, s[4:5] offset:848
	v_and_b32_e32 v1, 0xff, v227
	s_clause 0x1
	global_load_b128 v[60:63], v216, s[4:5] offset:800
	global_load_b128 v[96:99], v216, s[4:5] offset:816
	v_lshrrev_b16 v0, 13, v0
	global_load_b128 v[134:137], v216, s[4:5] offset:864
	v_mul_lo_u16 v1, 0x89, v1
	v_and_b32_e32 v2, 0xffff, v226
	v_mul_lo_u16 v0, v0, 60
	s_delay_alu instid0(VALU_DEP_3) | instskip(NEXT) | instid1(VALU_DEP_3)
	v_lshrrev_b16 v1, 13, v1
	v_mul_u32_u24_e32 v2, 0x8889, v2
	s_delay_alu instid0(VALU_DEP_3) | instskip(NEXT) | instid1(VALU_DEP_3)
	v_sub_nc_u16 v0, v225, v0
	v_mul_lo_u16 v1, v1, 60
	s_delay_alu instid0(VALU_DEP_2) | instskip(NEXT) | instid1(VALU_DEP_2)
	v_and_b32_e32 v179, 0xff, v0
	v_sub_nc_u16 v1, v227, v1
	s_delay_alu instid0(VALU_DEP_2) | instskip(NEXT) | instid1(VALU_DEP_2)
	v_mul_u32_u24_e32 v0, 5, v179
	v_and_b32_e32 v221, 0xff, v1
	v_lshrrev_b32_e32 v1, 21, v2
	s_delay_alu instid0(VALU_DEP_3) | instskip(NEXT) | instid1(VALU_DEP_3)
	v_lshlrev_b32_e32 v0, 4, v0
	v_mul_u32_u24_e32 v2, 5, v221
	s_delay_alu instid0(VALU_DEP_3)
	v_mul_lo_u16 v1, v1, 60
	v_lshl_add_u32 v221, v221, 4, 0
	s_clause 0x3
	global_load_b128 v[160:163], v0, s[4:5] offset:800
	global_load_b128 v[164:167], v0, s[4:5] offset:816
	;; [unrolled: 1-line block ×4, first 2 shown]
	v_lshlrev_b32_e32 v2, 4, v2
	global_load_b128 v[210:213], v0, s[4:5] offset:864
	v_sub_nc_u16 v1, v226, v1
	global_load_b128 v[225:228], v2, s[4:5] offset:800
	v_mul_u32_u24_e32 v0, 0x8889, v230
	v_and_b32_e32 v220, 0xffff, v1
	s_clause 0x3
	global_load_b128 v[36:39], v2, s[4:5] offset:816
	global_load_b128 v[32:35], v2, s[4:5] offset:832
	;; [unrolled: 1-line block ×4, first 2 shown]
	v_lshrrev_b32_e32 v0, 21, v0
	v_mul_u32_u24_e32 v1, 5, v220
	s_delay_alu instid0(VALU_DEP_2) | instskip(NEXT) | instid1(VALU_DEP_2)
	v_mul_lo_u16 v0, v0, 60
	v_lshlrev_b32_e32 v1, 4, v1
	s_clause 0x1
	global_load_b128 v[28:31], v1, s[4:5] offset:800
	global_load_b128 v[16:19], v1, s[4:5] offset:816
	v_sub_nc_u16 v0, v177, v0
	s_clause 0x1
	global_load_b128 v[24:27], v1, s[4:5] offset:832
	global_load_b128 v[12:15], v1, s[4:5] offset:848
	v_and_b32_e32 v219, 0xffff, v0
	s_delay_alu instid0(VALU_DEP_1) | instskip(NEXT) | instid1(VALU_DEP_1)
	v_mul_u32_u24_e32 v0, 5, v219
	v_lshlrev_b32_e32 v0, 4, v0
	s_clause 0x5
	global_load_b128 v[20:23], v1, s[4:5] offset:864
	global_load_b128 v[52:55], v0, s[4:5] offset:800
	;; [unrolled: 1-line block ×6, first 2 shown]
	ds_load_b128 v[88:91], v222 offset:5760
	ds_load_b128 v[112:115], v222 offset:6720
	;; [unrolled: 1-line block ×24, first 2 shown]
	s_wait_loadcnt_dscnt 0x1812
	v_mul_f64_e32 v[177:178], v[150:151], v[106:107]
	v_mul_f64_e32 v[156:157], v[140:141], v[106:107]
	;; [unrolled: 1-line block ×3, first 2 shown]
	s_wait_loadcnt 0x16
	v_mul_f64_e32 v[100:101], v[90:91], v[62:63]
	s_wait_loadcnt 0x15
	v_mul_f64_e32 v[142:143], v[116:117], v[98:99]
	v_mul_f64_e32 v[102:103], v[88:89], v[62:63]
	s_wait_loadcnt_dscnt 0x140b
	v_mul_f64_e32 v[214:215], v[192:193], v[136:137]
	v_mul_f64_e32 v[120:121], v[114:115], v[62:63]
	;; [unrolled: 1-line block ×12, first 2 shown]
	s_wait_dscnt 0xa
	v_mul_f64_e32 v[245:246], v[202:203], v[136:137]
	v_mul_f64_e32 v[247:248], v[200:201], v[136:137]
	s_wait_loadcnt 0x13
	v_mul_f64_e32 v[249:250], v[174:175], v[162:163]
	v_mul_f64_e32 v[162:163], v[172:173], v[162:163]
	s_wait_loadcnt 0x12
	v_mul_f64_e32 v[251:252], v[188:189], v[166:167]
	v_mul_f64_e32 v[253:254], v[186:187], v[166:167]
	s_wait_loadcnt_dscnt 0x1109
	v_mul_f64_e32 v[166:167], v[231:232], v[198:199]
	v_mul_f64_e32 v[198:199], v[229:230], v[198:199]
	v_fma_f64 v[148:149], v[148:149], v[104:105], -v[177:178]
	s_wait_loadcnt_dscnt 0x1007
	v_mul_f64_e32 v[177:178], v[235:236], v[206:207]
	v_mul_f64_e32 v[206:207], v[233:234], v[206:207]
	v_fma_f64 v[154:155], v[118:119], v[96:97], v[142:143]
	s_wait_loadcnt_dscnt 0xf06
	v_mul_f64_e32 v[217:218], v[239:240], v[212:213]
	v_mul_f64_e32 v[212:213], v[237:238], v[212:213]
	v_fma_f64 v[142:143], v[190:191], v[134:135], -v[214:215]
	s_wait_loadcnt_dscnt 0xe05
	v_mul_f64_e32 v[214:215], v[241:242], v[227:228]
	v_fma_f64 v[126:127], v[88:89], v[60:61], -v[100:101]
	v_fma_f64 v[124:125], v[90:91], v[60:61], v[102:103]
	ds_load_b128 v[100:103], v222 offset:20160
	ds_load_b128 v[88:91], v222 offset:21120
	v_fma_f64 v[122:123], v[112:113], v[60:61], -v[120:121]
	v_fma_f64 v[120:121], v[114:115], v[60:61], v[62:63]
	v_fma_f64 v[152:153], v[116:117], v[96:97], -v[132:133]
	v_fma_f64 v[144:145], v[128:129], v[96:97], -v[144:145]
	v_fma_f64 v[146:147], v[130:131], v[96:97], v[98:99]
	ds_load_b128 v[112:115], v222 offset:25920
	ds_load_b128 v[96:99], v222 offset:26880
	v_fma_f64 v[156:157], v[138:139], v[104:105], -v[156:157]
	v_fma_f64 v[158:159], v[140:141], v[104:105], v[158:159]
	v_fma_f64 v[150:151], v[150:151], v[104:105], v[106:107]
	ds_load_b128 v[116:119], v222 offset:31680
	ds_load_b128 v[104:107], v222 offset:32640
	v_fma_f64 v[136:137], v[168:169], v[108:109], -v[184:185]
	v_fma_f64 v[132:133], v[170:171], v[108:109], v[194:195]
	v_fma_f64 v[130:131], v[180:181], v[108:109], -v[208:209]
	v_fma_f64 v[128:129], v[182:183], v[108:109], v[110:111]
	ds_load_b128 v[60:63], v222
	ds_load_b128 v[108:111], v222 offset:33600
	v_mul_f64_e32 v[168:169], v[243:244], v[227:228]
	v_fma_f64 v[140:141], v[192:193], v[134:135], v[223:224]
	s_wait_loadcnt_dscnt 0xd0a
	v_mul_f64_e32 v[180:181], v[94:95], v[38:39]
	v_mul_f64_e32 v[194:195], v[92:93], v[38:39]
	s_wait_loadcnt_dscnt 0xc07
	v_mul_f64_e32 v[182:183], v[102:103], v[34:35]
	v_mul_f64_e32 v[184:185], v[100:101], v[34:35]
	v_fma_f64 v[38:39], v[172:173], v[160:161], -v[249:250]
	v_fma_f64 v[138:139], v[200:201], v[134:135], -v[245:246]
	v_fma_f64 v[134:135], v[202:203], v[134:135], v[247:248]
	s_wait_loadcnt_dscnt 0xb05
	v_mul_f64_e32 v[223:224], v[114:115], v[6:7]
	v_mul_f64_e32 v[227:228], v[112:113], v[6:7]
	v_fma_f64 v[34:35], v[174:175], v[160:161], v[162:163]
	s_wait_loadcnt 0x9
	v_mul_f64_e32 v[174:175], v[82:83], v[30:31]
	s_wait_dscnt 0x3
	v_mul_f64_e32 v[170:171], v[118:119], v[10:11]
	v_mul_f64_e32 v[172:173], v[116:117], v[10:11]
	v_fma_f64 v[160:161], v[186:187], v[164:165], -v[251:252]
	v_fma_f64 v[162:163], v[188:189], v[164:165], v[253:254]
	v_mul_f64_e32 v[186:187], v[80:81], v[30:31]
	s_wait_loadcnt 0x8
	v_mul_f64_e32 v[188:189], v[86:87], v[18:19]
	v_mul_f64_e32 v[190:191], v[84:85], v[18:19]
	s_wait_loadcnt 0x7
	v_mul_f64_e32 v[192:193], v[90:91], v[26:27]
	v_fma_f64 v[30:31], v[229:230], v[196:197], -v[166:167]
	v_fma_f64 v[164:165], v[231:232], v[196:197], v[198:199]
	v_mul_f64_e32 v[196:197], v[88:89], v[26:27]
	s_wait_loadcnt 0x6
	v_mul_f64_e32 v[198:199], v[98:99], v[14:15]
	v_mul_f64_e32 v[200:201], v[96:97], v[14:15]
	s_wait_loadcnt_dscnt 0x502
	v_mul_f64_e32 v[202:203], v[106:107], v[22:23]
	v_fma_f64 v[18:19], v[233:234], v[204:205], -v[177:178]
	v_fma_f64 v[10:11], v[235:236], v[204:205], v[206:207]
	v_mul_f64_e32 v[204:205], v[104:105], v[22:23]
	s_wait_loadcnt 0x4
	v_mul_f64_e32 v[206:207], v[66:67], v[54:55]
	v_mul_f64_e32 v[54:55], v[64:65], v[54:55]
	s_wait_loadcnt 0x3
	v_mul_f64_e32 v[208:209], v[70:71], v[50:51]
	v_fma_f64 v[26:27], v[237:238], v[210:211], -v[217:218]
	v_fma_f64 v[22:23], v[239:240], v[210:211], v[212:213]
	v_mul_f64_e32 v[50:51], v[68:69], v[50:51]
	s_wait_loadcnt 0x2
	v_mul_f64_e32 v[210:211], v[74:75], v[46:47]
	v_mul_f64_e32 v[46:47], v[72:73], v[46:47]
	s_wait_loadcnt 0x1
	v_mul_f64_e32 v[212:213], v[78:79], v[42:43]
	v_fma_f64 v[6:7], v[243:244], v[225:226], v[214:215]
	v_mul_f64_e32 v[42:43], v[76:77], v[42:43]
	s_wait_loadcnt_dscnt 0x0
	v_mul_f64_e32 v[214:215], v[110:111], v[58:59]
	v_mul_f64_e32 v[58:59], v[108:109], v[58:59]
	v_fma_f64 v[14:15], v[241:242], v[225:226], -v[168:169]
	v_fma_f64 v[166:167], v[92:93], v[36:37], -v[180:181]
	v_fma_f64 v[36:37], v[94:95], v[36:37], v[194:195]
	v_fma_f64 v[168:169], v[100:101], v[32:33], -v[182:183]
	v_fma_f64 v[32:33], v[102:103], v[32:33], v[184:185]
	;; [unrolled: 2-line block ×3, first 2 shown]
	v_fma_f64 v[80:81], v[80:81], v[28:29], -v[174:175]
	v_fma_f64 v[114:115], v[116:117], v[8:9], -v[170:171]
	v_fma_f64 v[8:9], v[118:119], v[8:9], v[172:173]
	v_lshl_add_u32 v246, v220, 4, 0
	v_lshl_add_u32 v247, v219, 4, 0
	v_fma_f64 v[28:29], v[82:83], v[28:29], v[186:187]
	v_fma_f64 v[82:83], v[84:85], v[16:17], -v[188:189]
	v_fma_f64 v[16:17], v[86:87], v[16:17], v[190:191]
	v_fma_f64 v[84:85], v[88:89], v[24:25], -v[192:193]
	ds_load_b128 v[92:95], v222 offset:960
	ds_load_b128 v[217:220], v222 offset:1920
	;; [unrolled: 1-line block ×4, first 2 shown]
	v_fma_f64 v[24:25], v[90:91], v[24:25], v[196:197]
	v_fma_f64 v[86:87], v[96:97], v[12:13], -v[198:199]
	v_fma_f64 v[12:13], v[98:99], v[12:13], v[200:201]
	v_fma_f64 v[88:89], v[104:105], v[20:21], -v[202:203]
	v_add_f64_e32 v[98:99], v[158:159], v[140:141]
	v_add_f64_e64 v[104:105], v[156:157], -v[142:143]
	v_fma_f64 v[20:21], v[106:107], v[20:21], v[204:205]
	v_fma_f64 v[64:65], v[64:65], v[52:53], -v[206:207]
	v_fma_f64 v[52:53], v[66:67], v[52:53], v[54:55]
	v_fma_f64 v[54:55], v[68:69], v[48:49], -v[208:209]
	v_add_f64_e32 v[66:67], v[152:153], v[136:137]
	v_add_f64_e64 v[68:69], v[154:155], -v[132:133]
	v_fma_f64 v[48:49], v[70:71], v[48:49], v[50:51]
	v_fma_f64 v[50:51], v[72:73], v[44:45], -v[210:211]
	v_fma_f64 v[44:45], v[74:75], v[44:45], v[46:47]
	v_fma_f64 v[46:47], v[76:77], v[40:41], -v[212:213]
	v_add_f64_e32 v[72:73], v[154:155], v[132:133]
	v_fma_f64 v[40:41], v[78:79], v[40:41], v[42:43]
	v_fma_f64 v[42:43], v[108:109], v[56:57], -v[214:215]
	v_fma_f64 v[56:57], v[110:111], v[56:57], v[58:59]
	v_add_f64_e32 v[78:79], v[156:157], v[142:143]
	v_add_f64_e32 v[58:59], v[60:61], v[152:153]
	v_add_f64_e32 v[70:71], v[62:63], v[154:155]
	v_add_f64_e64 v[74:75], v[152:153], -v[136:137]
	v_add_f64_e32 v[76:77], v[126:127], v[156:157]
	v_add_f64_e32 v[108:109], v[144:145], v[130:131]
	v_add_f64_e32 v[118:119], v[146:147], v[128:129]
	v_add_f64_e32 v[152:153], v[148:149], v[138:139]
	v_add_f64_e64 v[154:155], v[150:151], -v[134:135]
	v_add_f64_e32 v[156:157], v[120:121], v[150:151]
	;; [unrolled: 5-line block ×3, first 2 shown]
	v_add_f64_e32 v[164:165], v[164:165], v[22:23]
	s_wait_dscnt 0x3
	v_add_f64_e32 v[106:107], v[92:93], v[144:145]
	v_add_f64_e64 v[110:111], v[146:147], -v[128:129]
	v_add_f64_e32 v[116:117], v[94:95], v[146:147]
	v_add_f64_e32 v[146:147], v[122:123], v[148:149]
	v_add_f64_e64 v[194:195], v[36:37], -v[4:5]
	s_wait_dscnt 0x1
	v_add_f64_e32 v[196:197], v[102:103], v[36:37]
	v_add_f64_e32 v[36:37], v[36:37], v[4:5]
	;; [unrolled: 1-line block ×4, first 2 shown]
	v_add_f64_e64 v[202:203], v[32:33], -v[8:9]
	v_add_f64_e32 v[204:205], v[6:7], v[32:33]
	v_add_f64_e32 v[32:33], v[32:33], v[8:9]
	v_add_f64_e64 v[210:211], v[16:17], -v[12:13]
	s_wait_dscnt 0x0
	v_add_f64_e32 v[212:213], v[182:183], v[16:17]
	v_add_f64_e32 v[16:17], v[16:17], v[12:13]
	;; [unrolled: 1-line block ×3, first 2 shown]
	v_add_f64_e64 v[225:226], v[24:25], -v[20:21]
	v_add_f64_e32 v[227:228], v[28:29], v[24:25]
	v_add_f64_e32 v[24:25], v[24:25], v[20:21]
	v_add_f64_e32 v[243:244], v[52:53], v[44:45]
	v_add_f64_e32 v[239:240], v[50:51], v[42:43]
	v_add_f64_e64 v[241:242], v[44:45], -v[56:57]
	v_add_f64_e32 v[44:45], v[44:45], v[56:57]
	v_add_f64_e64 v[90:91], v[158:159], -v[140:141]
	v_add_f64_e64 v[233:234], v[48:49], -v[40:41]
	v_add_f64_e32 v[235:236], v[2:3], v[48:49]
	v_add_f64_e32 v[48:49], v[48:49], v[40:41]
	;; [unrolled: 1-line block ×3, first 2 shown]
	v_fma_f64 v[62:63], v[72:73], -0.5, v[62:63]
	v_fma_f64 v[72:73], v[78:79], -0.5, v[126:127]
	;; [unrolled: 1-line block ×3, first 2 shown]
	v_add_f64_e64 v[148:149], v[148:149], -v[138:139]
	v_add_f64_e32 v[158:159], v[217:218], v[160:161]
	v_add_f64_e32 v[177:178], v[38:39], v[30:31]
	v_add_f64_e32 v[231:232], v[54:55], v[46:47]
	v_add_f64_e32 v[58:59], v[58:59], v[136:137]
	v_fma_f64 v[60:61], v[66:67], -0.5, v[60:61]
	v_add_f64_e32 v[66:67], v[70:71], v[132:133]
	v_add_f64_e32 v[70:71], v[76:77], v[142:143]
	v_fma_f64 v[92:93], v[108:109], -0.5, v[92:93]
	v_fma_f64 v[94:95], v[118:119], -0.5, v[94:95]
	;; [unrolled: 1-line block ×4, first 2 shown]
	v_add_f64_e32 v[170:171], v[160:161], v[18:19]
	v_add_f64_e32 v[174:175], v[219:220], v[162:163]
	;; [unrolled: 1-line block ×3, first 2 shown]
	v_add_f64_e64 v[144:145], v[144:145], -v[130:131]
	v_add_f64_e64 v[172:173], v[162:163], -v[10:11]
	v_add_f64_e32 v[162:163], v[162:163], v[10:11]
	v_add_f64_e64 v[30:31], v[30:31], -v[26:27]
	v_add_f64_e32 v[192:193], v[166:167], v[112:113]
	v_fma_f64 v[38:39], v[184:185], -0.5, v[38:39]
	v_fma_f64 v[34:35], v[164:165], -0.5, v[34:35]
	v_add_f64_e32 v[190:191], v[100:101], v[166:167]
	v_add_f64_e64 v[168:169], v[168:169], -v[114:115]
	v_add_f64_e32 v[96:97], v[106:107], v[130:131]
	v_add_f64_e32 v[98:99], v[116:117], v[128:129]
	;; [unrolled: 1-line block ×4, first 2 shown]
	v_fma_f64 v[36:37], v[36:37], -0.5, v[102:103]
	v_add_f64_e32 v[102:103], v[198:199], v[114:115]
	v_fma_f64 v[114:115], v[200:201], -0.5, v[14:15]
	v_fma_f64 v[32:33], v[32:33], -0.5, v[6:7]
	v_add_f64_e32 v[214:215], v[80:81], v[84:85]
	v_add_f64_e64 v[84:85], v[84:85], -v[88:89]
	v_fma_f64 v[134:135], v[16:17], -0.5, v[182:183]
	v_fma_f64 v[16:17], v[223:224], -0.5, v[80:81]
	v_add_f64_e32 v[80:81], v[227:228], v[20:21]
	v_fma_f64 v[20:21], v[24:25], -0.5, v[28:29]
	v_add_f64_e64 v[50:51], v[50:51], -v[42:43]
	v_fma_f64 v[24:25], v[239:240], -0.5, v[64:65]
	v_fma_f64 v[28:29], v[44:45], -0.5, v[52:53]
	v_add_f64_e32 v[138:139], v[235:236], v[40:41]
	v_fma_f64 v[40:41], v[48:49], -0.5, v[2:3]
	v_add_f64_e32 v[48:49], v[237:238], v[42:43]
	v_fma_f64 v[42:43], v[90:91], s[2:3], v[72:73]
	v_fma_f64 v[52:53], v[104:105], s[0:1], v[78:79]
	;; [unrolled: 1-line block ×4, first 2 shown]
	v_add_f64_e32 v[229:230], v[0:1], v[54:55]
	v_add_f64_e32 v[120:121], v[158:159], v[18:19]
	;; [unrolled: 1-line block ×4, first 2 shown]
	v_fma_f64 v[136:137], v[231:232], -0.5, v[0:1]
	v_add_f64_e32 v[0:1], v[58:59], v[70:71]
	v_add_f64_e64 v[4:5], v[58:59], -v[70:71]
	v_fma_f64 v[58:59], v[148:149], s[0:1], v[118:119]
	v_fma_f64 v[70:71], v[154:155], s[2:3], v[108:109]
	v_add_f64_e64 v[160:161], v[160:161], -v[18:19]
	v_fma_f64 v[18:19], v[170:171], -0.5, v[217:218]
	v_add_f64_e32 v[122:123], v[174:175], v[10:11]
	v_add_f64_e32 v[22:23], v[188:189], v[22:23]
	;; [unrolled: 1-line block ×3, first 2 shown]
	v_add_f64_e64 v[6:7], v[66:67], -v[76:77]
	v_fma_f64 v[66:67], v[154:155], s[0:1], v[108:109]
	v_fma_f64 v[78:79], v[148:149], s[2:3], v[118:119]
	v_add_f64_e32 v[206:207], v[180:181], v[82:83]
	v_fma_f64 v[124:125], v[162:163], -0.5, v[219:220]
	v_fma_f64 v[100:101], v[192:193], -0.5, v[100:101]
	v_fma_f64 v[64:65], v[68:69], s[2:3], v[60:61]
	v_fma_f64 v[60:61], v[68:69], s[0:1], v[60:61]
	;; [unrolled: 1-line block ×12, first 2 shown]
	v_add_f64_e64 v[166:167], v[166:167], -v[112:113]
	v_add_f64_e32 v[112:113], v[190:191], v[112:113]
	v_add_f64_e32 v[128:129], v[204:205], v[8:9]
	;; [unrolled: 1-line block ×5, first 2 shown]
	v_add_f64_e64 v[12:13], v[96:97], -v[106:107]
	v_add_f64_e64 v[14:15], v[98:99], -v[116:117]
	v_fma_f64 v[106:107], v[168:169], s[0:1], v[32:33]
	v_fma_f64 v[116:117], v[202:203], s[0:1], v[114:115]
	;; [unrolled: 1-line block ×4, first 2 shown]
	v_add_f64_e32 v[208:209], v[82:83], v[86:87]
	v_fma_f64 v[142:143], v[84:85], s[0:1], v[20:21]
	v_fma_f64 v[146:147], v[225:226], s[2:3], v[16:17]
	;; [unrolled: 1-line block ×8, first 2 shown]
	v_mul_f64_e32 v[32:33], s[2:3], v[52:53]
	v_mul_f64_e32 v[38:39], s[0:1], v[42:43]
	v_mul_f64_e32 v[34:35], -0.5, v[44:45]
	v_mul_f64_e32 v[154:155], -0.5, v[72:73]
	v_add_f64_e64 v[82:83], v[82:83], -v[86:87]
	v_add_f64_e32 v[16:17], v[120:121], v[26:27]
	v_add_f64_e64 v[20:21], v[120:121], -v[26:27]
	v_mul_f64_e32 v[120:121], s[2:3], v[58:59]
	v_mul_f64_e32 v[156:157], s[0:1], v[70:71]
	v_fma_f64 v[96:97], v[172:173], s[2:3], v[18:19]
	v_fma_f64 v[98:99], v[172:173], s[0:1], v[18:19]
	v_add_f64_e32 v[18:19], v[122:123], v[22:23]
	v_add_f64_e64 v[22:23], v[122:123], -v[22:23]
	v_mul_f64_e32 v[122:123], -0.5, v[66:67]
	v_mul_f64_e32 v[158:159], -0.5, v[78:79]
	v_add_f64_e32 v[86:87], v[206:207], v[86:87]
	v_add_f64_e32 v[88:89], v[214:215], v[88:89]
	v_fma_f64 v[140:141], v[160:161], s[0:1], v[124:125]
	v_fma_f64 v[124:125], v[160:161], s[2:3], v[124:125]
	;; [unrolled: 1-line block ×4, first 2 shown]
	v_mul_f64_e32 v[100:101], s[2:3], v[94:95]
	v_mul_f64_e32 v[170:171], s[0:1], v[108:109]
	v_mul_f64_e32 v[168:169], -0.5, v[104:105]
	v_mul_f64_e32 v[172:173], -0.5, v[110:111]
	v_add_f64_e32 v[24:25], v[112:113], v[102:103]
	v_add_f64_e32 v[26:27], v[126:127], v[128:129]
	v_add_f64_e64 v[28:29], v[112:113], -v[102:103]
	v_add_f64_e64 v[30:31], v[126:127], -v[128:129]
	v_mul_f64_e32 v[102:103], s[2:3], v[106:107]
	v_mul_f64_e32 v[126:127], s[0:1], v[114:115]
	v_mul_f64_e32 v[112:113], -0.5, v[116:117]
	v_mul_f64_e32 v[128:129], -0.5, v[118:119]
	v_fma_f64 v[130:131], v[208:209], -0.5, v[180:181]
	v_mul_f64_e32 v[177:178], s[2:3], v[142:143]
	v_mul_f64_e32 v[181:182], s[0:1], v[146:147]
	v_lshl_add_u32 v245, v179, 4, 0
	v_mul_f64_e32 v[179:180], -0.5, v[144:145]
	v_mul_f64_e32 v[183:184], -0.5, v[84:85]
	v_add_f64_e64 v[54:55], v[54:55], -v[46:47]
	v_add_f64_e32 v[46:47], v[229:230], v[46:47]
	v_add_f64_e32 v[56:57], v[243:244], v[56:57]
	v_mul_f64_e32 v[185:186], s[2:3], v[148:149]
	v_mul_f64_e32 v[189:190], s[0:1], v[152:153]
	v_mul_f64_e32 v[187:188], -0.5, v[150:151]
	v_mul_f64_e32 v[191:192], -0.5, v[50:51]
	v_fma_f64 v[193:194], v[42:43], 0.5, v[32:33]
	v_fma_f64 v[195:196], v[52:53], 0.5, v[38:39]
	v_fma_f64 v[72:73], v[72:73], s[2:3], v[34:35]
	v_fma_f64 v[154:155], v[44:45], s[0:1], v[154:155]
	;; [unrolled: 1-line block ×4, first 2 shown]
	v_fma_f64 v[82:83], v[70:71], 0.5, v[120:121]
	v_fma_f64 v[120:121], v[58:59], 0.5, v[156:157]
	v_fma_f64 v[78:79], v[78:79], s[2:3], v[122:123]
	v_fma_f64 v[122:123], v[66:67], s[0:1], v[158:159]
	;; [unrolled: 1-line block ×4, first 2 shown]
	v_add_f64_e32 v[32:33], v[86:87], v[88:89]
	v_add_f64_e64 v[36:37], v[86:87], -v[88:89]
	v_fma_f64 v[88:89], v[108:109], 0.5, v[100:101]
	v_fma_f64 v[94:95], v[94:95], 0.5, v[170:171]
	v_fma_f64 v[100:101], v[110:111], s[2:3], v[168:169]
	v_fma_f64 v[104:105], v[104:105], s[0:1], v[172:173]
	v_add_f64_e32 v[34:35], v[132:133], v[80:81]
	v_add_f64_e64 v[38:39], v[132:133], -v[80:81]
	v_fma_f64 v[156:157], v[233:234], s[2:3], v[136:137]
	v_fma_f64 v[108:109], v[114:115], 0.5, v[102:103]
	v_fma_f64 v[106:107], v[106:107], 0.5, v[126:127]
	v_fma_f64 v[110:111], v[118:119], s[2:3], v[112:113]
	v_fma_f64 v[112:113], v[116:117], s[0:1], v[128:129]
	v_fma_f64 v[174:175], v[210:211], s[2:3], v[130:131]
	v_fma_f64 v[126:127], v[146:147], 0.5, v[177:178]
	v_fma_f64 v[132:133], v[142:143], 0.5, v[181:182]
	v_fma_f64 v[130:131], v[210:211], s[0:1], v[130:131]
	v_fma_f64 v[158:159], v[233:234], s[0:1], v[136:137]
	;; [unrolled: 1-line block ×6, first 2 shown]
	v_add_f64_e32 v[40:41], v[46:47], v[48:49]
	v_add_f64_e32 v[42:43], v[138:139], v[56:57]
	v_add_f64_e64 v[44:45], v[46:47], -v[48:49]
	v_add_f64_e64 v[46:47], v[138:139], -v[56:57]
	v_fma_f64 v[138:139], v[152:153], 0.5, v[185:186]
	v_fma_f64 v[144:145], v[148:149], 0.5, v[189:190]
	v_fma_f64 v[142:143], v[50:51], s[2:3], v[187:188]
	v_fma_f64 v[146:147], v[150:151], s[0:1], v[191:192]
	v_add_f64_e32 v[48:49], v[64:65], v[193:194]
	v_add_f64_e32 v[50:51], v[68:69], v[195:196]
	v_add_f64_e32 v[52:53], v[60:61], v[72:73]
	v_add_f64_e32 v[54:55], v[62:63], v[154:155]
	v_add_f64_e64 v[56:57], v[64:65], -v[193:194]
	v_add_f64_e64 v[58:59], v[68:69], -v[195:196]
	v_add_f64_e64 v[60:61], v[60:61], -v[72:73]
	v_add_f64_e64 v[62:63], v[62:63], -v[154:155]
	v_add_f64_e32 v[64:65], v[74:75], v[82:83]
	v_add_f64_e32 v[66:67], v[90:91], v[120:121]
	v_add_f64_e32 v[68:69], v[76:77], v[78:79]
	v_add_f64_e32 v[70:71], v[92:93], v[122:123]
	v_add_f64_e64 v[72:73], v[74:75], -v[82:83]
	v_add_f64_e64 v[74:75], v[90:91], -v[120:121]
	v_add_f64_e64 v[76:77], v[76:77], -v[78:79]
	v_add_f64_e64 v[78:79], v[92:93], -v[122:123]
	;; [unrolled: 8-line block ×6, first 2 shown]
	global_wb scope:SCOPE_SE
	s_barrier_signal -1
	s_barrier_wait -1
	global_inv scope:SCOPE_SE
	ds_store_b128 v222, v[0:3]
	ds_store_b128 v222, v[48:51] offset:960
	ds_store_b128 v222, v[52:55] offset:1920
	;; [unrolled: 1-line block ×35, first 2 shown]
	v_add_nc_u32_e32 v0, 60, v176
	global_wb scope:SCOPE_SE
	s_wait_dscnt 0x0
	s_barrier_signal -1
	s_barrier_wait -1
	global_inv scope:SCOPE_SE
	s_clause 0x3
	global_load_b128 v[76:79], v216, s[4:5] offset:5600
	global_load_b128 v[84:87], v216, s[4:5] offset:5616
	;; [unrolled: 1-line block ×4, first 2 shown]
	v_mul_u32_u24_e32 v0, 5, v0
	s_delay_alu instid0(VALU_DEP_1)
	v_lshlrev_b32_e32 v8, 4, v0
	s_clause 0xe
	global_load_b128 v[100:103], v216, s[4:5] offset:5664
	global_load_b128 v[108:111], v8, s[4:5] offset:5600
	;; [unrolled: 1-line block ×15, first 2 shown]
	v_add_nc_u32_e32 v9, 0x3840, v8
	s_clause 0x4
	global_load_b128 v[12:15], v8, s[4:5] offset:15264
	global_load_b128 v[28:31], v9, s[4:5] offset:5600
	;; [unrolled: 1-line block ×5, first 2 shown]
	v_add_nc_u32_e32 v8, 0x4b00, v8
	s_clause 0x5
	global_load_b128 v[32:35], v9, s[4:5] offset:5664
	global_load_b128 v[48:51], v8, s[4:5] offset:5600
	;; [unrolled: 1-line block ×6, first 2 shown]
	ds_load_b128 v[92:95], v222 offset:5760
	ds_load_b128 v[104:107], v222 offset:11520
	;; [unrolled: 1-line block ×24, first 2 shown]
	s_wait_loadcnt_dscnt 0x1913
	v_mul_f64_e32 v[142:143], v[154:155], v[102:103]
	s_wait_loadcnt_dscnt 0x1811
	v_mul_f64_e32 v[177:178], v[158:159], v[110:111]
	v_mul_f64_e32 v[136:137], v[106:107], v[86:87]
	;; [unrolled: 1-line block ×7, first 2 shown]
	s_wait_loadcnt_dscnt 0x170f
	v_mul_f64_e32 v[220:221], v[166:167], v[118:119]
	v_mul_f64_e32 v[118:119], v[164:165], v[118:119]
	s_wait_loadcnt_dscnt 0x160d
	v_mul_f64_e32 v[243:244], v[202:203], v[122:123]
	v_mul_f64_e32 v[122:123], v[200:201], v[122:123]
	;; [unrolled: 1-line block ×6, first 2 shown]
	s_wait_loadcnt_dscnt 0x150b
	v_mul_f64_e32 v[245:246], v[206:207], v[126:127]
	v_mul_f64_e32 v[126:127], v[204:205], v[126:127]
	s_wait_loadcnt_dscnt 0x1409
	v_mul_f64_e32 v[247:248], v[210:211], v[162:163]
	v_mul_f64_e32 v[249:250], v[208:209], v[162:163]
	;; [unrolled: 3-line block ×4, first 2 shown]
	v_fma_f64 v[142:143], v[152:153], v[100:101], -v[142:143]
	v_fma_f64 v[144:145], v[104:105], v[84:85], -v[136:137]
	;; [unrolled: 1-line block ×4, first 2 shown]
	v_fma_f64 v[136:137], v[134:135], v[96:97], v[98:99]
	v_fma_f64 v[134:135], v[156:157], v[108:109], -v[177:178]
	v_fma_f64 v[132:133], v[158:159], v[108:109], v[110:111]
	s_wait_loadcnt_dscnt 0x1106
	v_mul_f64_e32 v[108:109], v[225:226], v[182:183]
	v_mul_f64_e32 v[110:111], v[223:224], v[182:183]
	v_fma_f64 v[140:141], v[154:155], v[100:101], v[102:103]
	v_fma_f64 v[152:153], v[164:165], v[116:117], -v[220:221]
	v_fma_f64 v[154:155], v[166:167], v[116:117], v[118:119]
	s_wait_loadcnt_dscnt 0x1005
	v_mul_f64_e32 v[116:117], v[229:230], v[186:187]
	v_mul_f64_e32 v[118:119], v[227:228], v[186:187]
	v_fma_f64 v[164:165], v[200:201], v[120:121], -v[243:244]
	v_fma_f64 v[166:167], v[202:203], v[120:121], v[122:123]
	s_wait_loadcnt_dscnt 0xf04
	v_mul_f64_e32 v[120:121], v[233:234], v[190:191]
	v_mul_f64_e32 v[122:123], v[231:232], v[190:191]
	v_fma_f64 v[130:131], v[92:93], v[76:77], -v[128:129]
	v_fma_f64 v[128:129], v[94:95], v[76:77], v[78:79]
	v_fma_f64 v[148:149], v[106:107], v[84:85], v[86:87]
	ds_load_b128 v[92:95], v222 offset:20160
	ds_load_b128 v[84:87], v222 offset:21120
	v_fma_f64 v[150:151], v[114:115], v[88:89], v[90:91]
	ds_load_b128 v[104:107], v222 offset:25920
	ds_load_b128 v[88:91], v222 offset:26880
	;; [unrolled: 1-line block ×5, first 2 shown]
	ds_load_b128 v[76:79], v222
	s_wait_loadcnt_dscnt 0xe0b
	v_mul_f64_e32 v[177:178], v[237:238], v[194:195]
	v_mul_f64_e32 v[182:183], v[235:236], v[194:195]
	v_fma_f64 v[158:159], v[204:205], v[124:125], -v[245:246]
	v_fma_f64 v[156:157], v[206:207], v[124:125], v[126:127]
	s_wait_loadcnt_dscnt 0xd09
	v_mul_f64_e32 v[186:187], v[241:242], v[198:199]
	v_mul_f64_e32 v[190:191], v[239:240], v[198:199]
	v_fma_f64 v[162:163], v[208:209], v[160:161], -v[247:248]
	v_fma_f64 v[160:161], v[210:211], v[160:161], v[249:250]
	s_wait_loadcnt 0x9
	v_mul_f64_e32 v[208:209], v[74:75], v[30:31]
	v_mul_f64_e32 v[210:211], v[72:73], v[30:31]
	s_wait_dscnt 0x7
	v_mul_f64_e32 v[194:195], v[94:95], v[6:7]
	v_mul_f64_e32 v[198:199], v[92:93], v[6:7]
	s_wait_dscnt 0x5
	v_mul_f64_e32 v[200:201], v[106:107], v[2:3]
	s_wait_dscnt 0x3
	v_mul_f64_e32 v[204:205], v[114:115], v[14:15]
	v_mul_f64_e32 v[206:207], v[112:113], v[14:15]
	;; [unrolled: 1-line block ×3, first 2 shown]
	v_fma_f64 v[6:7], v[212:213], v[168:169], -v[251:252]
	v_fma_f64 v[2:3], v[214:215], v[168:169], v[170:171]
	s_wait_loadcnt 0x8
	v_mul_f64_e32 v[212:213], v[82:83], v[26:27]
	v_mul_f64_e32 v[214:215], v[80:81], v[26:27]
	v_fma_f64 v[168:169], v[216:217], v[172:173], -v[253:254]
	v_fma_f64 v[172:173], v[218:219], v[172:173], v[174:175]
	s_wait_loadcnt 0x7
	v_mul_f64_e32 v[216:217], v[86:87], v[22:23]
	v_mul_f64_e32 v[218:219], v[84:85], v[22:23]
	v_fma_f64 v[170:171], v[223:224], v[180:181], -v[108:109]
	v_fma_f64 v[174:175], v[225:226], v[180:181], v[110:111]
	s_wait_loadcnt_dscnt 0x502
	v_mul_f64_e32 v[179:180], v[102:103], v[34:35]
	v_mul_f64_e32 v[223:224], v[100:101], v[34:35]
	;; [unrolled: 1-line block ×4, first 2 shown]
	s_wait_loadcnt 0x4
	v_mul_f64_e32 v[225:226], v[58:59], v[50:51]
	v_mul_f64_e32 v[50:51], v[56:57], v[50:51]
	v_fma_f64 v[26:27], v[227:228], v[184:185], -v[116:117]
	v_fma_f64 v[18:19], v[229:230], v[184:185], v[118:119]
	s_wait_loadcnt 0x3
	v_mul_f64_e32 v[184:185], v[62:63], v[46:47]
	v_mul_f64_e32 v[46:47], v[60:61], v[46:47]
	s_wait_loadcnt 0x2
	v_mul_f64_e32 v[227:228], v[66:67], v[42:43]
	v_mul_f64_e32 v[42:43], v[64:65], v[42:43]
	v_fma_f64 v[34:35], v[231:232], v[188:189], -v[120:121]
	v_fma_f64 v[30:31], v[233:234], v[188:189], v[122:123]
	s_wait_loadcnt 0x1
	v_mul_f64_e32 v[188:189], v[70:71], v[38:39]
	v_mul_f64_e32 v[38:39], v[68:69], v[38:39]
	s_wait_loadcnt_dscnt 0x1
	v_mul_f64_e32 v[229:230], v[98:99], v[54:55]
	v_mul_f64_e32 v[54:55], v[96:97], v[54:55]
	v_fma_f64 v[14:15], v[237:238], v[192:193], v[182:183]
	v_fma_f64 v[72:73], v[72:73], v[28:29], -v[208:209]
	v_fma_f64 v[28:29], v[74:75], v[28:29], v[210:211]
	ds_load_b128 v[124:127], v222 offset:960
	ds_load_b128 v[120:123], v222 offset:1920
	v_fma_f64 v[92:93], v[92:93], v[4:5], -v[194:195]
	v_fma_f64 v[4:5], v[94:95], v[4:5], v[198:199]
	v_fma_f64 v[94:95], v[104:105], v[0:1], -v[200:201]
	v_fma_f64 v[104:105], v[112:113], v[12:13], -v[204:205]
	v_fma_f64 v[12:13], v[114:115], v[12:13], v[206:207]
	ds_load_b128 v[116:119], v222 offset:2880
	ds_load_b128 v[108:111], v222 offset:3840
	v_add_f64_e32 v[112:113], v[154:155], v[156:157]
	v_add_f64_e64 v[114:115], v[152:153], -v[158:159]
	v_fma_f64 v[74:75], v[80:81], v[24:25], -v[212:213]
	v_fma_f64 v[24:25], v[82:83], v[24:25], v[214:215]
	v_fma_f64 v[22:23], v[235:236], v[192:193], -v[177:178]
	v_fma_f64 v[177:178], v[239:240], v[196:197], -v[186:187]
	;; [unrolled: 1-line block ×3, first 2 shown]
	v_fma_f64 v[20:21], v[86:87], v[20:21], v[218:219]
	v_fma_f64 v[181:182], v[241:242], v[196:197], v[190:191]
	v_add_f64_e32 v[191:192], v[2:3], v[174:175]
	v_fma_f64 v[84:85], v[100:101], v[32:33], -v[179:180]
	v_fma_f64 v[32:33], v[102:103], v[32:33], v[223:224]
	v_fma_f64 v[82:83], v[88:89], v[16:17], -v[220:221]
	v_fma_f64 v[16:17], v[90:91], v[16:17], v[243:244]
	;; [unrolled: 2-line block ×3, first 2 shown]
	v_add_f64_e32 v[58:59], v[144:145], v[138:139]
	v_add_f64_e32 v[90:91], v[150:151], v[140:141]
	v_fma_f64 v[50:51], v[60:61], v[44:45], -v[184:185]
	v_fma_f64 v[44:45], v[62:63], v[44:45], v[46:47]
	v_fma_f64 v[46:47], v[64:65], v[40:41], -v[227:228]
	v_fma_f64 v[40:41], v[66:67], v[40:41], v[42:43]
	v_add_f64_e32 v[64:65], v[148:149], v[136:137]
	v_add_f64_e32 v[100:101], v[152:153], v[158:159]
	v_fma_f64 v[42:43], v[68:69], v[36:37], -v[188:189]
	v_fma_f64 v[36:37], v[70:71], v[36:37], v[38:39]
	v_fma_f64 v[38:39], v[96:97], v[52:53], -v[229:230]
	v_fma_f64 v[52:53], v[98:99], v[52:53], v[54:55]
	v_add_f64_e32 v[68:69], v[130:131], v[146:147]
	v_add_f64_e32 v[70:71], v[146:147], v[142:143]
	v_add_f64_e64 v[96:97], v[146:147], -v[142:143]
	s_wait_dscnt 0x3
	v_add_f64_e32 v[98:99], v[124:125], v[152:153]
	v_add_f64_e32 v[146:147], v[164:165], v[162:163]
	;; [unrolled: 1-line block ×6, first 2 shown]
	v_add_f64_e64 v[179:180], v[172:173], -v[18:19]
	s_wait_dscnt 0x2
	v_add_f64_e32 v[183:184], v[122:123], v[172:173]
	v_add_f64_e32 v[172:173], v[172:173], v[18:19]
	;; [unrolled: 1-line block ×3, first 2 shown]
	v_add_f64_e64 v[189:190], v[174:175], -v[30:31]
	v_add_f64_e32 v[174:175], v[174:175], v[30:31]
	v_fma_f64 v[0:1], v[106:107], v[0:1], v[202:203]
	v_add_f64_e32 v[203:204], v[92:93], v[104:105]
	v_add_f64_e64 v[205:206], v[4:5], -v[12:13]
	v_add_f64_e32 v[207:208], v[14:15], v[4:5]
	v_add_f64_e32 v[4:5], v[4:5], v[12:13]
	s_wait_dscnt 0x0
	v_add_f64_e32 v[215:216], v[110:111], v[24:25]
	v_add_f64_e32 v[219:220], v[80:81], v[84:85]
	v_add_f64_e64 v[223:224], v[20:21], -v[32:33]
	v_add_f64_e32 v[225:226], v[28:29], v[20:21]
	v_add_f64_e32 v[20:21], v[20:21], v[32:33]
	v_add_f64_e64 v[66:67], v[144:145], -v[138:139]
	;; [unrolled: 3-line block ×3, first 2 shown]
	v_add_f64_e64 v[86:87], v[150:151], -v[140:141]
	v_add_f64_e64 v[148:149], v[166:167], -v[160:161]
	v_add_f64_e32 v[150:151], v[132:133], v[166:167]
	v_add_f64_e32 v[166:167], v[168:169], v[26:27]
	v_add_f64_e64 v[213:214], v[24:25], -v[16:17]
	v_add_f64_e32 v[24:25], v[24:25], v[16:17]
	v_add_f64_e32 v[241:242], v[48:49], v[40:41]
	;; [unrolled: 1-line block ×3, first 2 shown]
	v_add_f64_e64 v[239:240], v[40:41], -v[52:53]
	v_add_f64_e32 v[40:41], v[40:41], v[52:53]
	v_add_f64_e64 v[102:103], v[154:155], -v[156:157]
	v_add_f64_e64 v[154:155], v[164:165], -v[162:163]
	v_fma_f64 v[58:59], v[58:59], -0.5, v[76:77]
	v_fma_f64 v[64:65], v[64:65], -0.5, v[78:79]
	v_fma_f64 v[78:79], v[90:91], -0.5, v[128:129]
	v_fma_f64 v[90:91], v[100:101], -0.5, v[124:125]
	v_fma_f64 v[100:101], v[112:113], -0.5, v[126:127]
	v_fma_f64 v[112:113], v[146:147], -0.5, v[134:135]
	v_fma_f64 v[126:127], v[152:153], -0.5, v[132:133]
	v_add_f64_e32 v[185:186], v[6:7], v[170:171]
	v_add_f64_e64 v[170:171], v[170:171], -v[34:35]
	v_add_f64_e32 v[199:200], v[118:119], v[181:182]
	v_add_f64_e32 v[54:55], v[54:55], v[138:139]
	;; [unrolled: 1-line block ×4, first 2 shown]
	v_fma_f64 v[70:71], v[70:71], -0.5, v[130:131]
	v_add_f64_e32 v[76:77], v[88:89], v[140:141]
	v_add_f64_e32 v[128:129], v[183:184], v[18:19]
	v_fma_f64 v[18:19], v[172:173], -0.5, v[122:123]
	v_fma_f64 v[122:123], v[187:188], -0.5, v[6:7]
	;; [unrolled: 1-line block ×3, first 2 shown]
	v_add_f64_e32 v[233:234], v[10:11], v[44:45]
	v_add_f64_e64 v[197:198], v[181:182], -v[0:1]
	v_add_f64_e32 v[181:182], v[181:182], v[0:1]
	v_add_f64_e32 v[201:202], v[22:23], v[92:93]
	v_add_f64_e64 v[92:93], v[92:93], -v[104:105]
	v_add_f64_e32 v[235:236], v[56:57], v[46:47]
	v_fma_f64 v[22:23], v[203:204], -0.5, v[22:23]
	v_add_f64_e32 v[134:135], v[207:208], v[12:13]
	v_fma_f64 v[12:13], v[4:5], -0.5, v[14:15]
	v_add_f64_e32 v[193:194], v[116:117], v[177:178]
	v_add_f64_e32 v[217:218], v[72:73], v[80:81]
	v_add_f64_e64 v[80:81], v[80:81], -v[84:85]
	v_add_f64_e32 v[136:137], v[215:216], v[16:17]
	v_fma_f64 v[16:17], v[219:220], -0.5, v[72:73]
	v_fma_f64 v[20:21], v[20:21], -0.5, v[28:29]
	v_add_f64_e32 v[164:165], v[120:121], v[168:169]
	v_add_f64_e32 v[227:228], v[8:9], v[50:51]
	;; [unrolled: 1-line block ×7, first 2 shown]
	v_add_f64_e64 v[231:232], v[44:45], -v[36:37]
	v_add_f64_e32 v[44:45], v[44:45], v[36:37]
	v_add_f64_e64 v[46:47], v[46:47], -v[38:39]
	v_add_f64_e32 v[124:125], v[150:151], v[160:161]
	v_fma_f64 v[120:121], v[166:167], -0.5, v[120:121]
	v_fma_f64 v[110:111], v[24:25], -0.5, v[110:111]
	;; [unrolled: 1-line block ×4, first 2 shown]
	v_fma_f64 v[144:145], v[60:61], s[2:3], v[58:59]
	v_fma_f64 v[146:147], v[60:61], s[0:1], v[58:59]
	;; [unrolled: 1-line block ×4, first 2 shown]
	v_add_f64_e64 v[168:169], v[168:169], -v[26:27]
	v_add_f64_e32 v[195:196], v[177:178], v[94:95]
	v_add_f64_e32 v[30:31], v[191:192], v[30:31]
	;; [unrolled: 1-line block ×5, first 2 shown]
	v_add_f64_e64 v[4:5], v[54:55], -v[68:69]
	v_add_f64_e64 v[6:7], v[62:63], -v[76:77]
	v_fma_f64 v[54:55], v[170:171], s[0:1], v[130:131]
	v_fma_f64 v[62:63], v[189:190], s[0:1], v[122:123]
	;; [unrolled: 1-line block ×5, first 2 shown]
	v_add_f64_e32 v[72:73], v[225:226], v[32:33]
	v_add_f64_e32 v[140:141], v[233:234], v[36:37]
	v_fma_f64 v[32:33], v[86:87], s[2:3], v[70:71]
	v_fma_f64 v[36:37], v[86:87], s[0:1], v[70:71]
	;; [unrolled: 1-line block ×3, first 2 shown]
	v_add_f64_e64 v[177:178], v[177:178], -v[94:95]
	v_fma_f64 v[118:119], v[181:182], -0.5, v[118:119]
	v_add_f64_e32 v[142:143], v[235:236], v[38:39]
	v_fma_f64 v[150:151], v[66:67], s[0:1], v[64:65]
	v_fma_f64 v[152:153], v[66:67], s[2:3], v[64:65]
	;; [unrolled: 1-line block ×9, first 2 shown]
	v_add_f64_e32 v[94:95], v[193:194], v[94:95]
	v_add_f64_e32 v[104:105], v[201:202], v[104:105]
	v_fma_f64 v[76:77], v[114:115], s[0:1], v[100:101]
	v_fma_f64 v[78:79], v[114:115], s[2:3], v[100:101]
	;; [unrolled: 1-line block ×5, first 2 shown]
	v_add_f64_e64 v[50:51], v[50:51], -v[42:43]
	v_add_f64_e32 v[26:27], v[164:165], v[26:27]
	v_add_f64_e32 v[34:35], v[185:186], v[34:35]
	;; [unrolled: 1-line block ×3, first 2 shown]
	v_fma_f64 v[42:43], v[229:230], -0.5, v[8:9]
	v_add_f64_e32 v[8:9], v[88:89], v[106:107]
	v_add_f64_e64 v[12:13], v[88:89], -v[106:107]
	v_fma_f64 v[106:107], v[223:224], s[0:1], v[16:17]
	v_fma_f64 v[80:81], v[80:81], s[2:3], v[20:21]
	v_add_f64_e32 v[209:210], v[108:109], v[74:75]
	v_fma_f64 v[108:109], v[211:212], -0.5, v[108:109]
	v_fma_f64 v[44:45], v[44:45], -0.5, v[10:11]
	v_add_f64_e32 v[10:11], v[98:99], v[124:125]
	v_add_f64_e64 v[14:15], v[98:99], -v[124:125]
	v_fma_f64 v[88:89], v[179:180], s[2:3], v[120:121]
	v_fma_f64 v[98:99], v[179:180], s[0:1], v[120:121]
	;; [unrolled: 1-line block ×6, first 2 shown]
	v_mul_f64_e32 v[156:157], s[2:3], v[48:49]
	v_mul_f64_e32 v[160:161], s[0:1], v[58:59]
	v_add_f64_e64 v[74:75], v[74:75], -v[82:83]
	v_fma_f64 v[116:117], v[195:196], -0.5, v[116:117]
	v_fma_f64 v[112:113], v[168:169], s[0:1], v[18:19]
	v_fma_f64 v[114:115], v[168:169], s[2:3], v[18:19]
	v_add_f64_e32 v[18:19], v[128:129], v[30:31]
	v_add_f64_e64 v[22:23], v[128:129], -v[30:31]
	v_mul_f64_e32 v[128:129], s[2:3], v[54:55]
	v_mul_f64_e32 v[164:165], -0.5, v[62:63]
	v_mul_f64_e32 v[166:167], s[0:1], v[68:69]
	v_mul_f64_e32 v[158:159], -0.5, v[56:57]
	v_mul_f64_e32 v[162:163], -0.5, v[60:61]
	;; [unrolled: 1-line block ×3, first 2 shown]
	v_fma_f64 v[172:173], v[177:178], s[0:1], v[118:119]
	v_fma_f64 v[118:119], v[177:178], s[2:3], v[118:119]
	v_mul_f64_e32 v[174:175], s[2:3], v[86:87]
	v_mul_f64_e32 v[177:178], -0.5, v[90:91]
	v_mul_f64_e32 v[179:180], s[0:1], v[96:97]
	v_add_f64_e32 v[24:25], v[94:95], v[104:105]
	v_add_f64_e64 v[28:29], v[94:95], -v[104:105]
	v_mul_f64_e32 v[94:95], s[2:3], v[100:101]
	v_mul_f64_e32 v[104:105], s[0:1], v[102:103]
	v_mul_f64_e32 v[181:182], -0.5, v[92:93]
	v_add_f64_e32 v[16:17], v[26:27], v[34:35]
	v_add_f64_e64 v[20:21], v[26:27], -v[34:35]
	v_add_f64_e32 v[26:27], v[132:133], v[134:135]
	v_add_f64_e64 v[30:31], v[132:133], -v[134:135]
	v_mul_f64_e32 v[132:133], -0.5, v[106:107]
	v_mul_f64_e32 v[134:135], -0.5, v[80:81]
	v_mul_f64_e32 v[46:47], s[2:3], v[38:39]
	v_mul_f64_e32 v[148:149], s[0:1], v[32:33]
	v_mul_f64_e32 v[130:131], -0.5, v[36:37]
	v_mul_f64_e32 v[154:155], -0.5, v[40:41]
	v_fma_f64 v[183:184], v[213:214], s[2:3], v[108:109]
	v_fma_f64 v[185:186], v[213:214], s[0:1], v[108:109]
	v_mul_f64_e32 v[108:109], s[2:3], v[120:121]
	v_mul_f64_e32 v[189:190], s[0:1], v[124:125]
	v_add_f64_e32 v[52:53], v[241:242], v[52:53]
	v_mul_f64_e32 v[187:188], -0.5, v[122:123]
	v_mul_f64_e32 v[191:192], -0.5, v[126:127]
	v_add_f64_e32 v[82:83], v[209:210], v[82:83]
	v_add_f64_e32 v[84:85], v[217:218], v[84:85]
	v_fma_f64 v[156:157], v[58:59], 0.5, v[156:157]
	v_fma_f64 v[160:161], v[48:49], 0.5, v[160:161]
	v_fma_f64 v[170:171], v[197:198], s[2:3], v[116:117]
	v_fma_f64 v[116:117], v[197:198], s[0:1], v[116:117]
	;; [unrolled: 1-line block ×4, first 2 shown]
	v_fma_f64 v[110:111], v[68:69], 0.5, v[128:129]
	v_fma_f64 v[128:129], v[70:71], s[2:3], v[164:165]
	v_fma_f64 v[164:165], v[54:55], 0.5, v[166:167]
	v_fma_f64 v[158:159], v[60:61], s[2:3], v[158:159]
	v_fma_f64 v[162:163], v[56:57], s[0:1], v[162:163]
	v_fma_f64 v[166:167], v[62:63], s[0:1], v[168:169]
	v_fma_f64 v[96:97], v[96:97], 0.5, v[174:175]
	v_fma_f64 v[174:175], v[92:93], s[2:3], v[177:178]
	v_fma_f64 v[177:178], v[86:87], 0.5, v[179:180]
	v_add_f64_e32 v[34:35], v[136:137], v[72:73]
	v_fma_f64 v[201:202], v[102:103], 0.5, v[94:95]
	v_fma_f64 v[203:204], v[100:101], 0.5, v[104:105]
	v_fma_f64 v[179:180], v[90:91], s[0:1], v[181:182]
	v_fma_f64 v[181:182], v[50:51], s[0:1], v[44:45]
	;; [unrolled: 1-line block ×3, first 2 shown]
	v_add_f64_e64 v[44:45], v[138:139], -v[142:143]
	v_fma_f64 v[168:169], v[231:232], s[0:1], v[42:43]
	v_fma_f64 v[132:133], v[80:81], s[2:3], v[132:133]
	;; [unrolled: 1-line block ×3, first 2 shown]
	v_fma_f64 v[193:194], v[32:33], 0.5, v[46:47]
	v_fma_f64 v[148:149], v[38:39], 0.5, v[148:149]
	v_fma_f64 v[130:131], v[40:41], s[2:3], v[130:131]
	v_fma_f64 v[154:155], v[36:37], s[0:1], v[154:155]
	v_add_f64_e64 v[38:39], v[136:137], -v[72:73]
	v_fma_f64 v[136:137], v[231:232], s[2:3], v[42:43]
	v_add_f64_e32 v[40:41], v[138:139], v[142:143]
	v_fma_f64 v[138:139], v[124:125], 0.5, v[108:109]
	v_fma_f64 v[142:143], v[120:121], 0.5, v[189:190]
	v_add_f64_e32 v[42:43], v[140:141], v[52:53]
	v_add_f64_e64 v[46:47], v[140:141], -v[52:53]
	v_fma_f64 v[140:141], v[126:127], s[2:3], v[187:188]
	v_fma_f64 v[187:188], v[122:123], s[0:1], v[191:192]
	v_add_f64_e32 v[32:33], v[82:83], v[84:85]
	v_add_f64_e64 v[36:37], v[82:83], -v[84:85]
	v_add_f64_e32 v[56:57], v[64:65], v[156:157]
	v_add_f64_e32 v[58:59], v[76:77], v[160:161]
	v_add_f64_e64 v[64:65], v[64:65], -v[156:157]
	global_wb scope:SCOPE_SE
	v_add_f64_e32 v[72:73], v[88:89], v[110:111]
	v_add_f64_e64 v[80:81], v[88:89], -v[110:111]
	v_add_f64_e32 v[74:75], v[112:113], v[164:165]
	v_add_f64_e32 v[60:61], v[66:67], v[158:159]
	;; [unrolled: 1-line block ×3, first 2 shown]
	v_add_f64_e64 v[68:69], v[66:67], -v[158:159]
	v_add_f64_e64 v[66:67], v[76:77], -v[160:161]
	v_add_f64_e64 v[70:71], v[78:79], -v[162:163]
	v_add_f64_e32 v[76:77], v[98:99], v[128:129]
	v_add_f64_e32 v[78:79], v[114:115], v[166:167]
	v_add_f64_e64 v[82:83], v[112:113], -v[164:165]
	v_add_f64_e64 v[84:85], v[98:99], -v[128:129]
	;; [unrolled: 1-line block ×3, first 2 shown]
	v_add_f64_e32 v[88:89], v[170:171], v[96:97]
	v_add_f64_e32 v[90:91], v[172:173], v[177:178]
	;; [unrolled: 1-line block ×8, first 2 shown]
	v_add_f64_e64 v[96:97], v[170:171], -v[96:97]
	v_add_f64_e64 v[98:99], v[172:173], -v[177:178]
	;; [unrolled: 1-line block ×8, first 2 shown]
	v_add_f64_e32 v[48:49], v[144:145], v[193:194]
	v_add_f64_e32 v[50:51], v[150:151], v[148:149]
	;; [unrolled: 1-line block ×4, first 2 shown]
	v_add_f64_e64 v[124:125], v[146:147], -v[130:131]
	v_add_f64_e32 v[128:129], v[136:137], v[138:139]
	v_add_f64_e32 v[130:131], v[181:182], v[142:143]
	;; [unrolled: 1-line block ×4, first 2 shown]
	v_add_f64_e64 v[120:121], v[144:145], -v[193:194]
	v_add_f64_e64 v[122:123], v[150:151], -v[148:149]
	;; [unrolled: 1-line block ×7, first 2 shown]
	s_barrier_signal -1
	s_barrier_wait -1
	global_inv scope:SCOPE_SE
	ds_store_b128 v222, v[8:11] offset:960
	ds_store_b128 v222, v[16:19] offset:1920
	;; [unrolled: 1-line block ×34, first 2 shown]
	ds_store_b128 v222, v[0:3]
	ds_store_b128 v222, v[140:143] offset:33600
	global_wb scope:SCOPE_SE
	s_wait_dscnt 0x0
	s_barrier_signal -1
	s_barrier_wait -1
	global_inv scope:SCOPE_SE
	s_and_saveexec_b32 s0, vcc_lo
	s_cbranch_execz .LBB0_21
; %bb.20:
	scratch_load_b64 v[1:2], off, off th:TH_LOAD_LU ; 8-byte Folded Reload
	v_mov_b32_e32 v177, 0
	v_add_nc_u32_e32 v7, 60, v176
	v_lshl_add_u32 v0, v176, 4, 0
	v_add_nc_u32_e32 v19, 0xb4, v176
	s_delay_alu instid0(VALU_DEP_4)
	v_dual_mov_b32 v24, v177 :: v_dual_add_nc_u32 v23, 0xf0, v176
	v_lshlrev_b64_e32 v[9:10], 4, v[176:177]
	v_mov_b32_e32 v8, v177
	v_mov_b32_e32 v20, v177
	ds_load_b128 v[3:6], v0
	v_lshlrev_b64_e32 v[39:40], 4, v[23:24]
	v_dual_mov_b32 v42, v177 :: v_dual_add_nc_u32 v41, 0x12c, v176
	v_lshlrev_b64_e32 v[7:8], 4, v[7:8]
	v_lshlrev_b64_e32 v[19:20], 4, v[19:20]
	s_wait_loadcnt 0x0
	v_add_co_u32 v1, vcc_lo, s8, v1
	s_wait_alu 0xfffd
	v_add_co_ci_u32_e32 v2, vcc_lo, s9, v2, vcc_lo
	s_delay_alu instid0(VALU_DEP_2) | instskip(SKIP_1) | instid1(VALU_DEP_2)
	v_add_co_u32 v31, vcc_lo, v1, v9
	s_wait_alu 0xfffd
	v_add_co_ci_u32_e32 v32, vcc_lo, v2, v10, vcc_lo
	v_dual_mov_b32 v10, v177 :: v_dual_add_nc_u32 v9, 0x78, v176
	v_add_co_u32 v33, vcc_lo, v1, v7
	s_wait_alu 0xfffd
	v_add_co_ci_u32_e32 v34, vcc_lo, v2, v8, vcc_lo
	s_delay_alu instid0(VALU_DEP_3)
	v_lshlrev_b64_e32 v[21:22], 4, v[9:10]
	ds_load_b128 v[7:10], v0 offset:960
	ds_load_b128 v[11:14], v0 offset:1920
	;; [unrolled: 1-line block ×3, first 2 shown]
	v_add_co_u32 v35, vcc_lo, v1, v21
	s_wait_alu 0xfffd
	v_add_co_ci_u32_e32 v36, vcc_lo, v2, v22, vcc_lo
	v_add_co_u32 v37, vcc_lo, v1, v19
	s_wait_alu 0xfffd
	v_add_co_ci_u32_e32 v38, vcc_lo, v2, v20, vcc_lo
	ds_load_b128 v[19:22], v0 offset:3840
	ds_load_b128 v[23:26], v0 offset:4800
	;; [unrolled: 1-line block ×3, first 2 shown]
	s_wait_dscnt 0x6
	global_store_b128 v[31:32], v[3:6], off
	s_wait_dscnt 0x5
	global_store_b128 v[33:34], v[7:10], off
	;; [unrolled: 2-line block ×4, first 2 shown]
	v_lshlrev_b64_e32 v[3:4], 4, v[41:42]
	v_add_co_u32 v7, vcc_lo, v1, v39
	v_dual_mov_b32 v6, v177 :: v_dual_add_nc_u32 v5, 0x168, v176
	s_wait_alu 0xfffd
	v_add_co_ci_u32_e32 v8, vcc_lo, v2, v40, vcc_lo
	s_delay_alu instid0(VALU_DEP_4)
	v_add_co_u32 v9, vcc_lo, v1, v3
	v_dual_mov_b32 v12, v177 :: v_dual_add_nc_u32 v11, 0x1a4, v176
	s_wait_alu 0xfffd
	v_add_co_ci_u32_e32 v10, vcc_lo, v2, v4, vcc_lo
	v_lshlrev_b64_e32 v[13:14], 4, v[5:6]
	ds_load_b128 v[3:6], v0 offset:5760
	s_wait_dscnt 0x3
	global_store_b128 v[7:8], v[19:22], off
	s_wait_dscnt 0x2
	global_store_b128 v[9:10], v[23:26], off
	v_lshlrev_b64_e32 v[7:8], 4, v[11:12]
	v_dual_mov_b32 v10, v177 :: v_dual_add_nc_u32 v9, 0x1e0, v176
	v_add_co_u32 v31, vcc_lo, v1, v13
	s_wait_alu 0xfffd
	v_add_co_ci_u32_e32 v32, vcc_lo, v2, v14, vcc_lo
	s_delay_alu instid0(VALU_DEP_4)
	v_add_co_u32 v33, vcc_lo, v1, v7
	v_dual_mov_b32 v20, v177 :: v_dual_add_nc_u32 v19, 0x21c, v176
	s_wait_alu 0xfffd
	v_add_co_ci_u32_e32 v34, vcc_lo, v2, v8, vcc_lo
	v_lshlrev_b64_e32 v[21:22], 4, v[9:10]
	ds_load_b128 v[7:10], v0 offset:6720
	ds_load_b128 v[11:14], v0 offset:7680
	;; [unrolled: 1-line block ×3, first 2 shown]
	v_lshlrev_b64_e32 v[19:20], 4, v[19:20]
	v_dual_mov_b32 v24, v177 :: v_dual_add_nc_u32 v23, 0x258, v176
	v_add_nc_u32_e32 v41, 0x294, v176
	v_add_co_u32 v35, vcc_lo, v1, v21
	s_wait_alu 0xfffd
	v_add_co_ci_u32_e32 v36, vcc_lo, v2, v22, vcc_lo
	v_add_co_u32 v37, vcc_lo, v1, v19
	s_wait_alu 0xfffd
	v_add_co_ci_u32_e32 v38, vcc_lo, v2, v20, vcc_lo
	ds_load_b128 v[19:22], v0 offset:9600
	v_lshlrev_b64_e32 v[39:40], 4, v[23:24]
	ds_load_b128 v[23:26], v0 offset:10560
	s_wait_dscnt 0x5
	global_store_b128 v[31:32], v[3:6], off
	s_wait_dscnt 0x4
	global_store_b128 v[33:34], v[7:10], off
	;; [unrolled: 2-line block ×4, first 2 shown]
	v_mov_b32_e32 v6, v177
	v_lshlrev_b64_e32 v[3:4], 4, v[41:42]
	v_add_co_u32 v7, vcc_lo, v1, v39
	v_dual_mov_b32 v12, v177 :: v_dual_add_nc_u32 v5, 0x2d0, v176
	s_wait_alu 0xfffd
	v_add_co_ci_u32_e32 v8, vcc_lo, v2, v40, vcc_lo
	s_delay_alu instid0(VALU_DEP_4)
	v_add_co_u32 v9, vcc_lo, v1, v3
	v_add_nc_u32_e32 v11, 0x30c, v176
	s_wait_alu 0xfffd
	v_add_co_ci_u32_e32 v10, vcc_lo, v2, v4, vcc_lo
	v_lshlrev_b64_e32 v[13:14], 4, v[5:6]
	ds_load_b128 v[3:6], v0 offset:11520
	s_wait_dscnt 0x2
	global_store_b128 v[7:8], v[19:22], off
	s_wait_dscnt 0x1
	global_store_b128 v[9:10], v[23:26], off
	v_mov_b32_e32 v10, v177
	v_lshlrev_b64_e32 v[7:8], 4, v[11:12]
	v_dual_mov_b32 v20, v177 :: v_dual_add_nc_u32 v9, 0x348, v176
	v_add_co_u32 v31, vcc_lo, v1, v13
	s_wait_alu 0xfffd
	v_add_co_ci_u32_e32 v32, vcc_lo, v2, v14, vcc_lo
	s_delay_alu instid0(VALU_DEP_4)
	v_add_co_u32 v33, vcc_lo, v1, v7
	v_dual_mov_b32 v24, v177 :: v_dual_add_nc_u32 v19, 0x384, v176
	s_wait_alu 0xfffd
	v_add_co_ci_u32_e32 v34, vcc_lo, v2, v8, vcc_lo
	v_lshlrev_b64_e32 v[21:22], 4, v[9:10]
	ds_load_b128 v[7:10], v0 offset:12480
	ds_load_b128 v[11:14], v0 offset:13440
	;; [unrolled: 1-line block ×3, first 2 shown]
	v_lshlrev_b64_e32 v[19:20], 4, v[19:20]
	v_add_nc_u32_e32 v23, 0x3c0, v176
	v_add_nc_u32_e32 v41, 0x3fc, v176
	v_add_co_u32 v35, vcc_lo, v1, v21
	s_wait_alu 0xfffd
	v_add_co_ci_u32_e32 v36, vcc_lo, v2, v22, vcc_lo
	v_add_co_u32 v37, vcc_lo, v1, v19
	s_wait_alu 0xfffd
	v_add_co_ci_u32_e32 v38, vcc_lo, v2, v20, vcc_lo
	ds_load_b128 v[19:22], v0 offset:15360
	v_lshlrev_b64_e32 v[39:40], 4, v[23:24]
	ds_load_b128 v[23:26], v0 offset:16320
	s_wait_dscnt 0x5
	global_store_b128 v[31:32], v[3:6], off
	s_wait_dscnt 0x4
	global_store_b128 v[33:34], v[7:10], off
	;; [unrolled: 2-line block ×4, first 2 shown]
	v_mov_b32_e32 v12, v177
	v_lshlrev_b64_e32 v[3:4], 4, v[41:42]
	v_add_co_u32 v7, vcc_lo, v1, v39
	v_dual_mov_b32 v6, v177 :: v_dual_add_nc_u32 v5, 0x438, v176
	s_wait_alu 0xfffd
	v_add_co_ci_u32_e32 v8, vcc_lo, v2, v40, vcc_lo
	s_delay_alu instid0(VALU_DEP_4)
	v_add_co_u32 v9, vcc_lo, v1, v3
	v_add_nc_u32_e32 v11, 0x474, v176
	s_wait_alu 0xfffd
	v_add_co_ci_u32_e32 v10, vcc_lo, v2, v4, vcc_lo
	v_lshlrev_b64_e32 v[13:14], 4, v[5:6]
	ds_load_b128 v[3:6], v0 offset:17280
	s_wait_dscnt 0x2
	global_store_b128 v[7:8], v[19:22], off
	s_wait_dscnt 0x1
	global_store_b128 v[9:10], v[23:26], off
	v_mov_b32_e32 v20, v177
	v_lshlrev_b64_e32 v[7:8], 4, v[11:12]
	v_dual_mov_b32 v24, v177 :: v_dual_add_nc_u32 v9, 0x4b0, v176
	v_add_co_u32 v31, vcc_lo, v1, v13
	v_mov_b32_e32 v10, v177
	s_wait_alu 0xfffd
	v_add_co_ci_u32_e32 v32, vcc_lo, v2, v14, vcc_lo
	v_add_co_u32 v33, vcc_lo, v1, v7
	v_add_nc_u32_e32 v19, 0x4ec, v176
	s_wait_alu 0xfffd
	v_add_co_ci_u32_e32 v34, vcc_lo, v2, v8, vcc_lo
	v_lshlrev_b64_e32 v[21:22], 4, v[9:10]
	ds_load_b128 v[7:10], v0 offset:18240
	ds_load_b128 v[11:14], v0 offset:19200
	;; [unrolled: 1-line block ×3, first 2 shown]
	v_lshlrev_b64_e32 v[19:20], 4, v[19:20]
	v_add_nc_u32_e32 v23, 0x528, v176
	v_add_nc_u32_e32 v41, 0x564, v176
	v_add_co_u32 v35, vcc_lo, v1, v21
	s_wait_alu 0xfffd
	v_add_co_ci_u32_e32 v36, vcc_lo, v2, v22, vcc_lo
	v_add_co_u32 v37, vcc_lo, v1, v19
	s_wait_alu 0xfffd
	v_add_co_ci_u32_e32 v38, vcc_lo, v2, v20, vcc_lo
	ds_load_b128 v[19:22], v0 offset:21120
	v_lshlrev_b64_e32 v[39:40], 4, v[23:24]
	ds_load_b128 v[23:26], v0 offset:22080
	s_wait_dscnt 0x5
	global_store_b128 v[31:32], v[3:6], off
	s_wait_dscnt 0x4
	global_store_b128 v[33:34], v[7:10], off
	;; [unrolled: 2-line block ×4, first 2 shown]
	v_lshlrev_b64_e32 v[3:4], 4, v[41:42]
	v_add_co_u32 v7, vcc_lo, v1, v39
	v_dual_mov_b32 v6, v177 :: v_dual_add_nc_u32 v5, 0x5a0, v176
	s_wait_alu 0xfffd
	v_add_co_ci_u32_e32 v8, vcc_lo, v2, v40, vcc_lo
	s_delay_alu instid0(VALU_DEP_4)
	v_add_co_u32 v9, vcc_lo, v1, v3
	v_dual_mov_b32 v12, v177 :: v_dual_add_nc_u32 v11, 0x5dc, v176
	s_wait_alu 0xfffd
	v_add_co_ci_u32_e32 v10, vcc_lo, v2, v4, vcc_lo
	v_lshlrev_b64_e32 v[13:14], 4, v[5:6]
	ds_load_b128 v[3:6], v0 offset:23040
	s_wait_dscnt 0x2
	global_store_b128 v[7:8], v[19:22], off
	s_wait_dscnt 0x1
	global_store_b128 v[9:10], v[23:26], off
	v_mov_b32_e32 v24, v177
	v_lshlrev_b64_e32 v[7:8], 4, v[11:12]
	v_add_nc_u32_e32 v9, 0x618, v176
	v_add_co_u32 v31, vcc_lo, v1, v13
	v_mov_b32_e32 v10, v177
	s_wait_alu 0xfffd
	v_add_co_ci_u32_e32 v32, vcc_lo, v2, v14, vcc_lo
	v_add_co_u32 v33, vcc_lo, v1, v7
	v_dual_mov_b32 v20, v177 :: v_dual_add_nc_u32 v19, 0x654, v176
	s_wait_alu 0xfffd
	v_add_co_ci_u32_e32 v34, vcc_lo, v2, v8, vcc_lo
	v_lshlrev_b64_e32 v[21:22], 4, v[9:10]
	ds_load_b128 v[7:10], v0 offset:24000
	ds_load_b128 v[11:14], v0 offset:24960
	;; [unrolled: 1-line block ×3, first 2 shown]
	v_lshlrev_b64_e32 v[19:20], 4, v[19:20]
	v_add_nc_u32_e32 v23, 0x690, v176
	v_add_nc_u32_e32 v41, 0x6cc, v176
	v_add_co_u32 v35, vcc_lo, v1, v21
	s_wait_alu 0xfffd
	v_add_co_ci_u32_e32 v36, vcc_lo, v2, v22, vcc_lo
	v_add_co_u32 v37, vcc_lo, v1, v19
	s_wait_alu 0xfffd
	v_add_co_ci_u32_e32 v38, vcc_lo, v2, v20, vcc_lo
	ds_load_b128 v[19:22], v0 offset:26880
	v_lshlrev_b64_e32 v[39:40], 4, v[23:24]
	ds_load_b128 v[23:26], v0 offset:27840
	s_wait_dscnt 0x5
	global_store_b128 v[31:32], v[3:6], off
	s_wait_dscnt 0x4
	global_store_b128 v[33:34], v[7:10], off
	s_wait_dscnt 0x3
	global_store_b128 v[35:36], v[11:14], off
	s_wait_dscnt 0x2
	global_store_b128 v[37:38], v[15:18], off
	v_add_nc_u32_e32 v5, 0x708, v176
	v_add_nc_u32_e32 v11, 0x744, v176
	;; [unrolled: 1-line block ×6, first 2 shown]
	v_mov_b32_e32 v32, v177
	v_mov_b32_e32 v18, v177
	v_lshlrev_b64_e32 v[3:4], 4, v[41:42]
	v_add_co_u32 v7, vcc_lo, v1, v39
	v_mov_b32_e32 v6, v177
	s_wait_alu 0xfffd
	v_add_co_ci_u32_e32 v8, vcc_lo, v2, v40, vcc_lo
	s_delay_alu instid0(VALU_DEP_4)
	v_add_co_u32 v9, vcc_lo, v1, v3
	v_mov_b32_e32 v12, v177
	s_wait_alu 0xfffd
	v_add_co_ci_u32_e32 v10, vcc_lo, v2, v4, vcc_lo
	v_lshlrev_b64_e32 v[13:14], 4, v[5:6]
	v_mov_b32_e32 v16, v177
	ds_load_b128 v[3:6], v0 offset:28800
	s_wait_dscnt 0x2
	global_store_b128 v[7:8], v[19:22], off
	s_wait_dscnt 0x1
	global_store_b128 v[9:10], v[23:26], off
	v_lshlrev_b64_e32 v[7:8], 4, v[11:12]
	v_lshlrev_b64_e32 v[35:36], 4, v[17:18]
	v_add_co_u32 v23, vcc_lo, v1, v13
	v_lshlrev_b64_e32 v[15:16], 4, v[15:16]
	s_wait_alu 0xfffd
	v_add_co_ci_u32_e32 v24, vcc_lo, v2, v14, vcc_lo
	v_add_co_u32 v25, vcc_lo, v1, v7
	s_wait_alu 0xfffd
	v_add_co_ci_u32_e32 v26, vcc_lo, v2, v8, vcc_lo
	v_add_co_u32 v33, vcc_lo, v1, v15
	ds_load_b128 v[7:10], v0 offset:29760
	ds_load_b128 v[11:14], v0 offset:30720
	s_wait_alu 0xfffd
	v_add_co_ci_u32_e32 v34, vcc_lo, v2, v16, vcc_lo
	ds_load_b128 v[15:18], v0 offset:31680
	ds_load_b128 v[19:22], v0 offset:32640
	v_lshlrev_b64_e32 v[31:32], 4, v[31:32]
	v_add_co_u32 v35, vcc_lo, v1, v35
	v_lshlrev_b64_e32 v[37:38], 4, v[176:177]
	s_wait_alu 0xfffd
	v_add_co_ci_u32_e32 v36, vcc_lo, v2, v36, vcc_lo
	s_delay_alu instid0(VALU_DEP_4)
	v_add_co_u32 v31, vcc_lo, v1, v31
	s_wait_alu 0xfffd
	v_add_co_ci_u32_e32 v32, vcc_lo, v2, v32, vcc_lo
	v_add_co_u32 v0, vcc_lo, v1, v37
	s_wait_alu 0xfffd
	v_add_co_ci_u32_e32 v1, vcc_lo, v2, v38, vcc_lo
	s_wait_dscnt 0x4
	global_store_b128 v[23:24], v[3:6], off
	s_wait_dscnt 0x3
	global_store_b128 v[25:26], v[7:10], off
	s_wait_dscnt 0x2
	global_store_b128 v[33:34], v[11:14], off
	s_wait_dscnt 0x1
	global_store_b128 v[35:36], v[15:18], off
	s_wait_dscnt 0x0
	s_clause 0x1
	global_store_b128 v[31:32], v[19:22], off
	global_store_b128 v[0:1], v[27:30], off
.LBB0_21:
	s_nop 0
	s_sendmsg sendmsg(MSG_DEALLOC_VGPRS)
	s_endpgm
	.section	.rodata,"a",@progbits
	.p2align	6, 0x0
	.amdhsa_kernel fft_rtc_fwd_len2160_factors_10_6_6_6_wgs_60_tpt_60_halfLds_dp_ip_CI_unitstride_sbrr_C2R_dirReg
		.amdhsa_group_segment_fixed_size 0
		.amdhsa_private_segment_fixed_size 140
		.amdhsa_kernarg_size 88
		.amdhsa_user_sgpr_count 2
		.amdhsa_user_sgpr_dispatch_ptr 0
		.amdhsa_user_sgpr_queue_ptr 0
		.amdhsa_user_sgpr_kernarg_segment_ptr 1
		.amdhsa_user_sgpr_dispatch_id 0
		.amdhsa_user_sgpr_private_segment_size 0
		.amdhsa_wavefront_size32 1
		.amdhsa_uses_dynamic_stack 0
		.amdhsa_enable_private_segment 1
		.amdhsa_system_sgpr_workgroup_id_x 1
		.amdhsa_system_sgpr_workgroup_id_y 0
		.amdhsa_system_sgpr_workgroup_id_z 0
		.amdhsa_system_sgpr_workgroup_info 0
		.amdhsa_system_vgpr_workitem_id 0
		.amdhsa_next_free_vgpr 256
		.amdhsa_next_free_sgpr 32
		.amdhsa_reserve_vcc 1
		.amdhsa_float_round_mode_32 0
		.amdhsa_float_round_mode_16_64 0
		.amdhsa_float_denorm_mode_32 3
		.amdhsa_float_denorm_mode_16_64 3
		.amdhsa_fp16_overflow 0
		.amdhsa_workgroup_processor_mode 1
		.amdhsa_memory_ordered 1
		.amdhsa_forward_progress 0
		.amdhsa_round_robin_scheduling 0
		.amdhsa_exception_fp_ieee_invalid_op 0
		.amdhsa_exception_fp_denorm_src 0
		.amdhsa_exception_fp_ieee_div_zero 0
		.amdhsa_exception_fp_ieee_overflow 0
		.amdhsa_exception_fp_ieee_underflow 0
		.amdhsa_exception_fp_ieee_inexact 0
		.amdhsa_exception_int_div_zero 0
	.end_amdhsa_kernel
	.text
.Lfunc_end0:
	.size	fft_rtc_fwd_len2160_factors_10_6_6_6_wgs_60_tpt_60_halfLds_dp_ip_CI_unitstride_sbrr_C2R_dirReg, .Lfunc_end0-fft_rtc_fwd_len2160_factors_10_6_6_6_wgs_60_tpt_60_halfLds_dp_ip_CI_unitstride_sbrr_C2R_dirReg
                                        ; -- End function
	.section	.AMDGPU.csdata,"",@progbits
; Kernel info:
; codeLenInByte = 24820
; NumSgprs: 34
; NumVgprs: 256
; ScratchSize: 140
; MemoryBound: 0
; FloatMode: 240
; IeeeMode: 1
; LDSByteSize: 0 bytes/workgroup (compile time only)
; SGPRBlocks: 4
; VGPRBlocks: 31
; NumSGPRsForWavesPerEU: 34
; NumVGPRsForWavesPerEU: 256
; Occupancy: 5
; WaveLimiterHint : 1
; COMPUTE_PGM_RSRC2:SCRATCH_EN: 1
; COMPUTE_PGM_RSRC2:USER_SGPR: 2
; COMPUTE_PGM_RSRC2:TRAP_HANDLER: 0
; COMPUTE_PGM_RSRC2:TGID_X_EN: 1
; COMPUTE_PGM_RSRC2:TGID_Y_EN: 0
; COMPUTE_PGM_RSRC2:TGID_Z_EN: 0
; COMPUTE_PGM_RSRC2:TIDIG_COMP_CNT: 0
	.text
	.p2alignl 7, 3214868480
	.fill 96, 4, 3214868480
	.type	__hip_cuid_f24268e0254a28bb,@object ; @__hip_cuid_f24268e0254a28bb
	.section	.bss,"aw",@nobits
	.globl	__hip_cuid_f24268e0254a28bb
__hip_cuid_f24268e0254a28bb:
	.byte	0                               ; 0x0
	.size	__hip_cuid_f24268e0254a28bb, 1

	.ident	"AMD clang version 19.0.0git (https://github.com/RadeonOpenCompute/llvm-project roc-6.4.0 25133 c7fe45cf4b819c5991fe208aaa96edf142730f1d)"
	.section	".note.GNU-stack","",@progbits
	.addrsig
	.addrsig_sym __hip_cuid_f24268e0254a28bb
	.amdgpu_metadata
---
amdhsa.kernels:
  - .args:
      - .actual_access:  read_only
        .address_space:  global
        .offset:         0
        .size:           8
        .value_kind:     global_buffer
      - .offset:         8
        .size:           8
        .value_kind:     by_value
      - .actual_access:  read_only
        .address_space:  global
        .offset:         16
        .size:           8
        .value_kind:     global_buffer
      - .actual_access:  read_only
        .address_space:  global
        .offset:         24
        .size:           8
        .value_kind:     global_buffer
      - .offset:         32
        .size:           8
        .value_kind:     by_value
      - .actual_access:  read_only
        .address_space:  global
        .offset:         40
        .size:           8
        .value_kind:     global_buffer
      - .actual_access:  read_only
        .address_space:  global
        .offset:         48
        .size:           8
        .value_kind:     global_buffer
      - .offset:         56
        .size:           4
        .value_kind:     by_value
      - .actual_access:  read_only
        .address_space:  global
        .offset:         64
        .size:           8
        .value_kind:     global_buffer
      - .actual_access:  read_only
        .address_space:  global
        .offset:         72
        .size:           8
        .value_kind:     global_buffer
      - .address_space:  global
        .offset:         80
        .size:           8
        .value_kind:     global_buffer
    .group_segment_fixed_size: 0
    .kernarg_segment_align: 8
    .kernarg_segment_size: 88
    .language:       OpenCL C
    .language_version:
      - 2
      - 0
    .max_flat_workgroup_size: 60
    .name:           fft_rtc_fwd_len2160_factors_10_6_6_6_wgs_60_tpt_60_halfLds_dp_ip_CI_unitstride_sbrr_C2R_dirReg
    .private_segment_fixed_size: 140
    .sgpr_count:     34
    .sgpr_spill_count: 0
    .symbol:         fft_rtc_fwd_len2160_factors_10_6_6_6_wgs_60_tpt_60_halfLds_dp_ip_CI_unitstride_sbrr_C2R_dirReg.kd
    .uniform_work_group_size: 1
    .uses_dynamic_stack: false
    .vgpr_count:     256
    .vgpr_spill_count: 34
    .wavefront_size: 32
    .workgroup_processor_mode: 1
amdhsa.target:   amdgcn-amd-amdhsa--gfx1201
amdhsa.version:
  - 1
  - 2
...

	.end_amdgpu_metadata
